;; amdgpu-corpus repo=ROCm/rocFFT kind=compiled arch=gfx1100 opt=O3
	.text
	.amdgcn_target "amdgcn-amd-amdhsa--gfx1100"
	.amdhsa_code_object_version 6
	.protected	fft_rtc_back_len3600_factors_10_10_6_6_wgs_120_tpt_120_halfLds_dp_ip_CI_unitstride_sbrr_C2R_dirReg ; -- Begin function fft_rtc_back_len3600_factors_10_10_6_6_wgs_120_tpt_120_halfLds_dp_ip_CI_unitstride_sbrr_C2R_dirReg
	.globl	fft_rtc_back_len3600_factors_10_10_6_6_wgs_120_tpt_120_halfLds_dp_ip_CI_unitstride_sbrr_C2R_dirReg
	.p2align	8
	.type	fft_rtc_back_len3600_factors_10_10_6_6_wgs_120_tpt_120_halfLds_dp_ip_CI_unitstride_sbrr_C2R_dirReg,@function
fft_rtc_back_len3600_factors_10_10_6_6_wgs_120_tpt_120_halfLds_dp_ip_CI_unitstride_sbrr_C2R_dirReg: ; @fft_rtc_back_len3600_factors_10_10_6_6_wgs_120_tpt_120_halfLds_dp_ip_CI_unitstride_sbrr_C2R_dirReg
; %bb.0:
	s_clause 0x2
	s_load_b128 s[4:7], s[0:1], 0x0
	s_load_b64 s[8:9], s[0:1], 0x50
	s_load_b64 s[10:11], s[0:1], 0x18
	v_mul_u32_u24_e32 v1, 0x223, v0
	v_mov_b32_e32 v3, 0
	v_mov_b32_e32 v4, 0
	s_delay_alu instid0(VALU_DEP_3) | instskip(SKIP_1) | instid1(VALU_DEP_1)
	v_lshrrev_b32_e32 v2, 16, v1
	v_mov_b32_e32 v1, 0
	v_dual_mov_b32 v6, v1 :: v_dual_add_nc_u32 v5, s15, v2
	s_waitcnt lgkmcnt(0)
	v_cmp_lt_u64_e64 s2, s[6:7], 2
	s_delay_alu instid0(VALU_DEP_1)
	s_and_b32 vcc_lo, exec_lo, s2
	s_cbranch_vccnz .LBB0_8
; %bb.1:
	s_load_b64 s[2:3], s[0:1], 0x10
	v_mov_b32_e32 v3, 0
	s_add_u32 s12, s10, 8
	v_mov_b32_e32 v4, 0
	s_addc_u32 s13, s11, 0
	s_mov_b64 s[16:17], 1
	s_waitcnt lgkmcnt(0)
	s_add_u32 s14, s2, 8
	s_addc_u32 s15, s3, 0
.LBB0_2:                                ; =>This Inner Loop Header: Depth=1
	s_load_b64 s[18:19], s[14:15], 0x0
                                        ; implicit-def: $vgpr7_vgpr8
	s_mov_b32 s2, exec_lo
	s_waitcnt lgkmcnt(0)
	v_or_b32_e32 v2, s19, v6
	s_delay_alu instid0(VALU_DEP_1)
	v_cmpx_ne_u64_e32 0, v[1:2]
	s_xor_b32 s3, exec_lo, s2
	s_cbranch_execz .LBB0_4
; %bb.3:                                ;   in Loop: Header=BB0_2 Depth=1
	v_cvt_f32_u32_e32 v2, s18
	v_cvt_f32_u32_e32 v7, s19
	s_sub_u32 s2, 0, s18
	s_subb_u32 s20, 0, s19
	s_delay_alu instid0(VALU_DEP_1) | instskip(NEXT) | instid1(VALU_DEP_1)
	v_fmac_f32_e32 v2, 0x4f800000, v7
	v_rcp_f32_e32 v2, v2
	s_waitcnt_depctr 0xfff
	v_mul_f32_e32 v2, 0x5f7ffffc, v2
	s_delay_alu instid0(VALU_DEP_1) | instskip(NEXT) | instid1(VALU_DEP_1)
	v_mul_f32_e32 v7, 0x2f800000, v2
	v_trunc_f32_e32 v7, v7
	s_delay_alu instid0(VALU_DEP_1) | instskip(SKIP_1) | instid1(VALU_DEP_2)
	v_fmac_f32_e32 v2, 0xcf800000, v7
	v_cvt_u32_f32_e32 v7, v7
	v_cvt_u32_f32_e32 v2, v2
	s_delay_alu instid0(VALU_DEP_2) | instskip(NEXT) | instid1(VALU_DEP_2)
	v_mul_lo_u32 v8, s2, v7
	v_mul_hi_u32 v9, s2, v2
	v_mul_lo_u32 v10, s20, v2
	s_delay_alu instid0(VALU_DEP_2) | instskip(SKIP_1) | instid1(VALU_DEP_2)
	v_add_nc_u32_e32 v8, v9, v8
	v_mul_lo_u32 v9, s2, v2
	v_add_nc_u32_e32 v8, v8, v10
	s_delay_alu instid0(VALU_DEP_2) | instskip(NEXT) | instid1(VALU_DEP_2)
	v_mul_hi_u32 v10, v2, v9
	v_mul_lo_u32 v11, v2, v8
	v_mul_hi_u32 v12, v2, v8
	v_mul_hi_u32 v13, v7, v9
	v_mul_lo_u32 v9, v7, v9
	v_mul_hi_u32 v14, v7, v8
	v_mul_lo_u32 v8, v7, v8
	v_add_co_u32 v10, vcc_lo, v10, v11
	v_add_co_ci_u32_e32 v11, vcc_lo, 0, v12, vcc_lo
	s_delay_alu instid0(VALU_DEP_2) | instskip(NEXT) | instid1(VALU_DEP_2)
	v_add_co_u32 v9, vcc_lo, v10, v9
	v_add_co_ci_u32_e32 v9, vcc_lo, v11, v13, vcc_lo
	v_add_co_ci_u32_e32 v10, vcc_lo, 0, v14, vcc_lo
	s_delay_alu instid0(VALU_DEP_2) | instskip(NEXT) | instid1(VALU_DEP_2)
	v_add_co_u32 v8, vcc_lo, v9, v8
	v_add_co_ci_u32_e32 v9, vcc_lo, 0, v10, vcc_lo
	s_delay_alu instid0(VALU_DEP_2) | instskip(NEXT) | instid1(VALU_DEP_2)
	v_add_co_u32 v2, vcc_lo, v2, v8
	v_add_co_ci_u32_e32 v7, vcc_lo, v7, v9, vcc_lo
	s_delay_alu instid0(VALU_DEP_2) | instskip(SKIP_1) | instid1(VALU_DEP_3)
	v_mul_hi_u32 v8, s2, v2
	v_mul_lo_u32 v10, s20, v2
	v_mul_lo_u32 v9, s2, v7
	s_delay_alu instid0(VALU_DEP_1) | instskip(SKIP_1) | instid1(VALU_DEP_2)
	v_add_nc_u32_e32 v8, v8, v9
	v_mul_lo_u32 v9, s2, v2
	v_add_nc_u32_e32 v8, v8, v10
	s_delay_alu instid0(VALU_DEP_2) | instskip(NEXT) | instid1(VALU_DEP_2)
	v_mul_hi_u32 v10, v2, v9
	v_mul_lo_u32 v11, v2, v8
	v_mul_hi_u32 v12, v2, v8
	v_mul_hi_u32 v13, v7, v9
	v_mul_lo_u32 v9, v7, v9
	v_mul_hi_u32 v14, v7, v8
	v_mul_lo_u32 v8, v7, v8
	v_add_co_u32 v10, vcc_lo, v10, v11
	v_add_co_ci_u32_e32 v11, vcc_lo, 0, v12, vcc_lo
	s_delay_alu instid0(VALU_DEP_2) | instskip(NEXT) | instid1(VALU_DEP_2)
	v_add_co_u32 v9, vcc_lo, v10, v9
	v_add_co_ci_u32_e32 v9, vcc_lo, v11, v13, vcc_lo
	v_add_co_ci_u32_e32 v10, vcc_lo, 0, v14, vcc_lo
	s_delay_alu instid0(VALU_DEP_2) | instskip(NEXT) | instid1(VALU_DEP_2)
	v_add_co_u32 v8, vcc_lo, v9, v8
	v_add_co_ci_u32_e32 v9, vcc_lo, 0, v10, vcc_lo
	s_delay_alu instid0(VALU_DEP_2) | instskip(NEXT) | instid1(VALU_DEP_2)
	v_add_co_u32 v2, vcc_lo, v2, v8
	v_add_co_ci_u32_e32 v13, vcc_lo, v7, v9, vcc_lo
	s_delay_alu instid0(VALU_DEP_2) | instskip(SKIP_1) | instid1(VALU_DEP_3)
	v_mul_hi_u32 v14, v5, v2
	v_mad_u64_u32 v[9:10], null, v6, v2, 0
	v_mad_u64_u32 v[7:8], null, v5, v13, 0
	;; [unrolled: 1-line block ×3, first 2 shown]
	s_delay_alu instid0(VALU_DEP_2) | instskip(NEXT) | instid1(VALU_DEP_3)
	v_add_co_u32 v2, vcc_lo, v14, v7
	v_add_co_ci_u32_e32 v7, vcc_lo, 0, v8, vcc_lo
	s_delay_alu instid0(VALU_DEP_2) | instskip(NEXT) | instid1(VALU_DEP_2)
	v_add_co_u32 v2, vcc_lo, v2, v9
	v_add_co_ci_u32_e32 v2, vcc_lo, v7, v10, vcc_lo
	v_add_co_ci_u32_e32 v7, vcc_lo, 0, v12, vcc_lo
	s_delay_alu instid0(VALU_DEP_2) | instskip(NEXT) | instid1(VALU_DEP_2)
	v_add_co_u32 v2, vcc_lo, v2, v11
	v_add_co_ci_u32_e32 v9, vcc_lo, 0, v7, vcc_lo
	s_delay_alu instid0(VALU_DEP_2) | instskip(SKIP_1) | instid1(VALU_DEP_3)
	v_mul_lo_u32 v10, s19, v2
	v_mad_u64_u32 v[7:8], null, s18, v2, 0
	v_mul_lo_u32 v11, s18, v9
	s_delay_alu instid0(VALU_DEP_2) | instskip(NEXT) | instid1(VALU_DEP_2)
	v_sub_co_u32 v7, vcc_lo, v5, v7
	v_add3_u32 v8, v8, v11, v10
	s_delay_alu instid0(VALU_DEP_1) | instskip(NEXT) | instid1(VALU_DEP_1)
	v_sub_nc_u32_e32 v10, v6, v8
	v_subrev_co_ci_u32_e64 v10, s2, s19, v10, vcc_lo
	v_add_co_u32 v11, s2, v2, 2
	s_delay_alu instid0(VALU_DEP_1) | instskip(SKIP_3) | instid1(VALU_DEP_3)
	v_add_co_ci_u32_e64 v12, s2, 0, v9, s2
	v_sub_co_u32 v13, s2, v7, s18
	v_sub_co_ci_u32_e32 v8, vcc_lo, v6, v8, vcc_lo
	v_subrev_co_ci_u32_e64 v10, s2, 0, v10, s2
	v_cmp_le_u32_e32 vcc_lo, s18, v13
	s_delay_alu instid0(VALU_DEP_3) | instskip(SKIP_1) | instid1(VALU_DEP_4)
	v_cmp_eq_u32_e64 s2, s19, v8
	v_cndmask_b32_e64 v13, 0, -1, vcc_lo
	v_cmp_le_u32_e32 vcc_lo, s19, v10
	v_cndmask_b32_e64 v14, 0, -1, vcc_lo
	v_cmp_le_u32_e32 vcc_lo, s18, v7
	;; [unrolled: 2-line block ×3, first 2 shown]
	v_cndmask_b32_e64 v15, 0, -1, vcc_lo
	v_cmp_eq_u32_e32 vcc_lo, s19, v10
	s_delay_alu instid0(VALU_DEP_2) | instskip(SKIP_3) | instid1(VALU_DEP_3)
	v_cndmask_b32_e64 v7, v15, v7, s2
	v_cndmask_b32_e32 v10, v14, v13, vcc_lo
	v_add_co_u32 v13, vcc_lo, v2, 1
	v_add_co_ci_u32_e32 v14, vcc_lo, 0, v9, vcc_lo
	v_cmp_ne_u32_e32 vcc_lo, 0, v10
	s_delay_alu instid0(VALU_DEP_2) | instskip(NEXT) | instid1(VALU_DEP_4)
	v_cndmask_b32_e32 v8, v14, v12, vcc_lo
	v_cndmask_b32_e32 v10, v13, v11, vcc_lo
	v_cmp_ne_u32_e32 vcc_lo, 0, v7
	s_delay_alu instid0(VALU_DEP_2)
	v_dual_cndmask_b32 v7, v2, v10 :: v_dual_cndmask_b32 v8, v9, v8
.LBB0_4:                                ;   in Loop: Header=BB0_2 Depth=1
	s_and_not1_saveexec_b32 s2, s3
	s_cbranch_execz .LBB0_6
; %bb.5:                                ;   in Loop: Header=BB0_2 Depth=1
	v_cvt_f32_u32_e32 v2, s18
	s_sub_i32 s3, 0, s18
	s_delay_alu instid0(VALU_DEP_1) | instskip(SKIP_2) | instid1(VALU_DEP_1)
	v_rcp_iflag_f32_e32 v2, v2
	s_waitcnt_depctr 0xfff
	v_mul_f32_e32 v2, 0x4f7ffffe, v2
	v_cvt_u32_f32_e32 v2, v2
	s_delay_alu instid0(VALU_DEP_1) | instskip(NEXT) | instid1(VALU_DEP_1)
	v_mul_lo_u32 v7, s3, v2
	v_mul_hi_u32 v7, v2, v7
	s_delay_alu instid0(VALU_DEP_1) | instskip(NEXT) | instid1(VALU_DEP_1)
	v_add_nc_u32_e32 v2, v2, v7
	v_mul_hi_u32 v2, v5, v2
	s_delay_alu instid0(VALU_DEP_1) | instskip(SKIP_1) | instid1(VALU_DEP_2)
	v_mul_lo_u32 v7, v2, s18
	v_add_nc_u32_e32 v8, 1, v2
	v_sub_nc_u32_e32 v7, v5, v7
	s_delay_alu instid0(VALU_DEP_1) | instskip(SKIP_1) | instid1(VALU_DEP_2)
	v_subrev_nc_u32_e32 v9, s18, v7
	v_cmp_le_u32_e32 vcc_lo, s18, v7
	v_dual_cndmask_b32 v7, v7, v9 :: v_dual_cndmask_b32 v2, v2, v8
	s_delay_alu instid0(VALU_DEP_1) | instskip(NEXT) | instid1(VALU_DEP_2)
	v_cmp_le_u32_e32 vcc_lo, s18, v7
	v_add_nc_u32_e32 v8, 1, v2
	s_delay_alu instid0(VALU_DEP_1)
	v_dual_cndmask_b32 v7, v2, v8 :: v_dual_mov_b32 v8, v1
.LBB0_6:                                ;   in Loop: Header=BB0_2 Depth=1
	s_or_b32 exec_lo, exec_lo, s2
	s_load_b64 s[2:3], s[12:13], 0x0
	s_delay_alu instid0(VALU_DEP_1) | instskip(NEXT) | instid1(VALU_DEP_2)
	v_mul_lo_u32 v2, v8, s18
	v_mul_lo_u32 v11, v7, s19
	v_mad_u64_u32 v[9:10], null, v7, s18, 0
	s_add_u32 s16, s16, 1
	s_addc_u32 s17, s17, 0
	s_add_u32 s12, s12, 8
	s_addc_u32 s13, s13, 0
	;; [unrolled: 2-line block ×3, first 2 shown]
	s_delay_alu instid0(VALU_DEP_1) | instskip(SKIP_1) | instid1(VALU_DEP_2)
	v_add3_u32 v2, v10, v11, v2
	v_sub_co_u32 v9, vcc_lo, v5, v9
	v_sub_co_ci_u32_e32 v2, vcc_lo, v6, v2, vcc_lo
	s_waitcnt lgkmcnt(0)
	s_delay_alu instid0(VALU_DEP_2) | instskip(NEXT) | instid1(VALU_DEP_2)
	v_mul_lo_u32 v10, s3, v9
	v_mul_lo_u32 v2, s2, v2
	v_mad_u64_u32 v[5:6], null, s2, v9, v[3:4]
	v_cmp_ge_u64_e64 s2, s[16:17], s[6:7]
	s_delay_alu instid0(VALU_DEP_1) | instskip(NEXT) | instid1(VALU_DEP_2)
	s_and_b32 vcc_lo, exec_lo, s2
	v_add3_u32 v4, v10, v6, v2
	s_delay_alu instid0(VALU_DEP_3)
	v_mov_b32_e32 v3, v5
	s_cbranch_vccnz .LBB0_9
; %bb.7:                                ;   in Loop: Header=BB0_2 Depth=1
	v_dual_mov_b32 v5, v7 :: v_dual_mov_b32 v6, v8
	s_branch .LBB0_2
.LBB0_8:
	v_dual_mov_b32 v8, v6 :: v_dual_mov_b32 v7, v5
.LBB0_9:
	s_lshl_b64 s[2:3], s[6:7], 3
	s_delay_alu instid0(SALU_CYCLE_1)
	s_add_u32 s2, s10, s2
	s_addc_u32 s3, s11, s3
	s_load_b64 s[2:3], s[2:3], 0x0
	s_load_b64 s[0:1], s[0:1], 0x20
	s_waitcnt lgkmcnt(0)
	v_mul_lo_u32 v5, s2, v8
	v_mul_lo_u32 v6, s3, v7
	v_mad_u64_u32 v[1:2], null, s2, v7, v[3:4]
	v_mul_hi_u32 v3, 0x2222223, v0
	v_cmp_gt_u64_e32 vcc_lo, s[0:1], v[7:8]
	s_delay_alu instid0(VALU_DEP_3) | instskip(NEXT) | instid1(VALU_DEP_3)
	v_add3_u32 v2, v6, v2, v5
	v_mul_u32_u24_e32 v3, 0x78, v3
	s_delay_alu instid0(VALU_DEP_2) | instskip(NEXT) | instid1(VALU_DEP_2)
	v_lshlrev_b64 v[1:2], 4, v[1:2]
	v_sub_nc_u32_e32 v116, v0, v3
	scratch_store_b64 off, v[1:2], off      ; 8-byte Folded Spill
	s_and_saveexec_b32 s1, vcc_lo
	s_cbranch_execz .LBB0_13
; %bb.10:
	scratch_load_b64 v[0:1], off, off       ; 8-byte Folded Reload
	v_mov_b32_e32 v117, 0
	v_or_b32_e32 v38, 0x780, v116
	s_delay_alu instid0(VALU_DEP_2) | instskip(SKIP_1) | instid1(VALU_DEP_1)
	v_lshlrev_b64 v[2:3], 4, v[116:117]
	v_mov_b32_e32 v39, v117
	v_lshlrev_b64 v[38:39], 4, v[38:39]
	s_waitcnt vmcnt(0)
	v_add_co_u32 v0, s0, s8, v0
	s_delay_alu instid0(VALU_DEP_1) | instskip(NEXT) | instid1(VALU_DEP_2)
	v_add_co_ci_u32_e64 v1, s0, s9, v1, s0
	v_add_co_u32 v34, s0, v0, v2
	s_delay_alu instid0(VALU_DEP_1) | instskip(SKIP_4) | instid1(VALU_DEP_1)
	v_add_co_ci_u32_e64 v35, s0, v1, v3, s0
	s_clause 0x1
	global_load_b128 v[2:5], v[34:35], off
	global_load_b128 v[6:9], v[34:35], off offset:1920
	v_add_co_u32 v18, s0, 0x1000, v34
	v_add_co_ci_u32_e64 v19, s0, 0, v35, s0
	v_add_co_u32 v26, s0, 0x2000, v34
	s_delay_alu instid0(VALU_DEP_1) | instskip(SKIP_1) | instid1(VALU_DEP_1)
	v_add_co_ci_u32_e64 v27, s0, 0, v35, s0
	v_add_co_u32 v36, s0, 0x3000, v34
	v_add_co_ci_u32_e64 v37, s0, 0, v35, s0
	v_add_co_u32 v42, s0, 0x4000, v34
	s_delay_alu instid0(VALU_DEP_1) | instskip(SKIP_1) | instid1(VALU_DEP_1)
	v_add_co_ci_u32_e64 v43, s0, 0, v35, s0
	;; [unrolled: 5-line block ×6, first 2 shown]
	v_add_co_u32 v110, s0, 0xc000, v34
	v_add_co_ci_u32_e64 v111, s0, 0, v35, s0
	v_add_co_u32 v114, s0, 0xd000, v34
	s_clause 0x5
	global_load_b128 v[10:13], v[34:35], off offset:3840
	global_load_b128 v[14:17], v[18:19], off offset:1664
	;; [unrolled: 1-line block ×6, first 2 shown]
	v_add_co_ci_u32_e64 v115, s0, 0, v35, s0
	s_clause 0x15
	global_load_b128 v[34:37], v[36:37], off offset:3072
	global_load_b128 v[38:41], v[42:43], off offset:896
	global_load_b128 v[42:45], v[42:43], off offset:2816
	global_load_b128 v[46:49], v[50:51], off offset:640
	global_load_b128 v[50:53], v[50:51], off offset:2560
	global_load_b128 v[54:57], v[58:59], off offset:384
	global_load_b128 v[58:61], v[58:59], off offset:2304
	global_load_b128 v[62:65], v[70:71], off offset:128
	global_load_b128 v[66:69], v[66:67], off
	global_load_b128 v[70:73], v[70:71], off offset:3968
	global_load_b128 v[74:77], v[78:79], off offset:1792
	;; [unrolled: 1-line block ×13, first 2 shown]
	v_lshl_add_u32 v114, v116, 4, 0
	v_cmp_eq_u32_e64 s0, 0x77, v116
	s_waitcnt vmcnt(29)
	ds_store_b128 v114, v[2:5]
	s_waitcnt vmcnt(28)
	ds_store_b128 v114, v[6:9] offset:1920
	s_waitcnt vmcnt(27)
	ds_store_b128 v114, v[10:13] offset:3840
	;; [unrolled: 2-line block ×29, first 2 shown]
	s_and_saveexec_b32 s2, s0
	s_cbranch_execz .LBB0_12
; %bb.11:
	v_add_co_u32 v0, s0, 0xe000, v0
	s_delay_alu instid0(VALU_DEP_1)
	v_add_co_ci_u32_e64 v1, s0, 0, v1, s0
	v_mov_b32_e32 v116, 0x77
	global_load_b128 v[0:3], v[0:1], off offset:256
	s_waitcnt vmcnt(0)
	ds_store_b128 v117, v[0:3] offset:57600
.LBB0_12:
	s_or_b32 exec_lo, exec_lo, s2
.LBB0_13:
	s_delay_alu instid0(SALU_CYCLE_1)
	s_or_b32 exec_lo, exec_lo, s1
	v_lshlrev_b32_e32 v0, 4, v116
	s_waitcnt lgkmcnt(0)
	s_waitcnt_vscnt null, 0x0
	s_barrier
	buffer_gl0_inv
	s_add_u32 s1, s4, 0xe060
	v_add_nc_u32_e32 v236, 0, v0
	v_sub_nc_u32_e32 v10, 0, v0
	s_addc_u32 s2, s5, 0
	s_mov_b32 s3, exec_lo
                                        ; implicit-def: $vgpr4_vgpr5
	ds_load_b64 v[6:7], v236
	ds_load_b64 v[8:9], v10 offset:57600
	s_waitcnt lgkmcnt(0)
	v_add_f64 v[0:1], v[6:7], v[8:9]
	v_add_f64 v[2:3], v[6:7], -v[8:9]
	v_cmpx_ne_u32_e32 0, v116
	s_xor_b32 s3, exec_lo, s3
	s_cbranch_execz .LBB0_15
; %bb.14:
	v_mov_b32_e32 v117, 0
	v_add_f64 v[13:14], v[6:7], v[8:9]
	v_add_f64 v[15:16], v[6:7], -v[8:9]
	s_delay_alu instid0(VALU_DEP_3) | instskip(NEXT) | instid1(VALU_DEP_1)
	v_lshlrev_b64 v[0:1], 4, v[116:117]
	v_add_co_u32 v0, s0, s1, v0
	s_delay_alu instid0(VALU_DEP_1)
	v_add_co_ci_u32_e64 v1, s0, s2, v1, s0
	global_load_b128 v[2:5], v[0:1], off
	ds_load_b64 v[0:1], v10 offset:57608
	ds_load_b64 v[11:12], v236 offset:8
	s_waitcnt lgkmcnt(0)
	v_add_f64 v[6:7], v[0:1], v[11:12]
	v_add_f64 v[0:1], v[11:12], -v[0:1]
	s_waitcnt vmcnt(0)
	v_fma_f64 v[8:9], v[15:16], v[4:5], v[13:14]
	v_fma_f64 v[11:12], -v[15:16], v[4:5], v[13:14]
	s_delay_alu instid0(VALU_DEP_3) | instskip(SKIP_1) | instid1(VALU_DEP_4)
	v_fma_f64 v[13:14], v[6:7], v[4:5], -v[0:1]
	v_fma_f64 v[4:5], v[6:7], v[4:5], v[0:1]
	v_fma_f64 v[0:1], -v[6:7], v[2:3], v[8:9]
	s_delay_alu instid0(VALU_DEP_4) | instskip(NEXT) | instid1(VALU_DEP_4)
	v_fma_f64 v[6:7], v[6:7], v[2:3], v[11:12]
	v_fma_f64 v[8:9], v[15:16], v[2:3], v[13:14]
	s_delay_alu instid0(VALU_DEP_4)
	v_fma_f64 v[2:3], v[15:16], v[2:3], v[4:5]
	v_dual_mov_b32 v4, v116 :: v_dual_mov_b32 v5, v117
	ds_store_b128 v10, v[6:9] offset:57600
.LBB0_15:
	s_and_not1_saveexec_b32 s0, s3
	s_cbranch_execz .LBB0_17
; %bb.16:
	v_mov_b32_e32 v8, 0
	ds_load_b128 v[4:7], v8 offset:28800
	s_waitcnt lgkmcnt(0)
	v_add_f64 v[11:12], v[4:5], v[4:5]
	v_mul_f64 v[13:14], v[6:7], -2.0
	v_mov_b32_e32 v4, 0
	v_mov_b32_e32 v5, 0
	ds_store_b128 v8, v[11:14] offset:28800
.LBB0_17:
	s_or_b32 exec_lo, exec_lo, s0
	v_lshlrev_b64 v[4:5], 4, v[4:5]
	s_mov_b32 s18, 0x134454ff
	s_mov_b32 s19, 0xbfee6f0e
	;; [unrolled: 1-line block ×5, first 2 shown]
	v_add_co_u32 v4, s0, s1, v4
	s_delay_alu instid0(VALU_DEP_1) | instskip(SKIP_1) | instid1(VALU_DEP_2)
	v_add_co_ci_u32_e64 v5, s0, s2, v5, s0
	s_mov_b32 s21, 0xbfe2cf23
	v_add_co_u32 v23, s0, 0x1000, v4
	s_clause 0x1
	global_load_b128 v[6:9], v[4:5], off offset:1920
	global_load_b128 v[11:14], v[4:5], off offset:3840
	ds_store_b128 v236, v[0:3]
	ds_load_b128 v[0:3], v236 offset:1920
	ds_load_b128 v[15:18], v10 offset:55680
	v_add_co_ci_u32_e64 v24, s0, 0, v5, s0
	s_mov_b32 s3, 0x3fe2cf23
	s_mov_b32 s2, s20
	;; [unrolled: 1-line block ×3, first 2 shown]
	global_load_b128 v[19:22], v[23:24], off offset:1664
	s_mov_b32 s7, 0x3fd3c6ef
	s_mov_b32 s15, 0xbfd3c6ef
	;; [unrolled: 1-line block ×7, first 2 shown]
	s_waitcnt lgkmcnt(0)
	v_add_f64 v[25:26], v[0:1], v[15:16]
	v_add_f64 v[27:28], v[17:18], v[2:3]
	v_add_f64 v[29:30], v[0:1], -v[15:16]
	v_add_f64 v[0:1], v[2:3], -v[17:18]
	s_waitcnt vmcnt(2)
	s_delay_alu instid0(VALU_DEP_2) | instskip(NEXT) | instid1(VALU_DEP_2)
	v_fma_f64 v[2:3], v[29:30], v[8:9], v[25:26]
	v_fma_f64 v[15:16], v[27:28], v[8:9], v[0:1]
	v_fma_f64 v[17:18], -v[29:30], v[8:9], v[25:26]
	v_fma_f64 v[8:9], v[27:28], v[8:9], -v[0:1]
	s_delay_alu instid0(VALU_DEP_4) | instskip(NEXT) | instid1(VALU_DEP_4)
	v_fma_f64 v[0:1], -v[27:28], v[6:7], v[2:3]
	v_fma_f64 v[2:3], v[29:30], v[6:7], v[15:16]
	s_delay_alu instid0(VALU_DEP_4) | instskip(NEXT) | instid1(VALU_DEP_4)
	v_fma_f64 v[15:16], v[27:28], v[6:7], v[17:18]
	v_fma_f64 v[17:18], v[29:30], v[6:7], v[8:9]
	ds_store_b128 v236, v[0:3] offset:1920
	ds_store_b128 v10, v[15:18] offset:55680
	ds_load_b128 v[0:3], v236 offset:3840
	ds_load_b128 v[6:9], v10 offset:53760
	global_load_b128 v[15:18], v[23:24], off offset:3584
	s_waitcnt lgkmcnt(0)
	v_add_f64 v[23:24], v[0:1], v[6:7]
	v_add_f64 v[25:26], v[8:9], v[2:3]
	v_add_f64 v[27:28], v[0:1], -v[6:7]
	v_add_f64 v[0:1], v[2:3], -v[8:9]
	s_waitcnt vmcnt(2)
	s_delay_alu instid0(VALU_DEP_2) | instskip(NEXT) | instid1(VALU_DEP_2)
	v_fma_f64 v[2:3], v[27:28], v[13:14], v[23:24]
	v_fma_f64 v[6:7], v[25:26], v[13:14], v[0:1]
	v_fma_f64 v[8:9], -v[27:28], v[13:14], v[23:24]
	v_fma_f64 v[13:14], v[25:26], v[13:14], -v[0:1]
	v_add_co_u32 v23, s0, 0x2000, v4
	s_delay_alu instid0(VALU_DEP_1)
	v_add_co_ci_u32_e64 v24, s0, 0, v5, s0
	v_fma_f64 v[0:1], -v[25:26], v[11:12], v[2:3]
	v_fma_f64 v[2:3], v[27:28], v[11:12], v[6:7]
	v_fma_f64 v[6:7], v[25:26], v[11:12], v[8:9]
	v_fma_f64 v[8:9], v[27:28], v[11:12], v[13:14]
	ds_store_b128 v236, v[0:3] offset:3840
	ds_store_b128 v10, v[6:9] offset:53760
	ds_load_b128 v[0:3], v236 offset:5760
	ds_load_b128 v[6:9], v10 offset:51840
	global_load_b128 v[11:14], v[23:24], off offset:1408
	s_waitcnt lgkmcnt(0)
	v_add_f64 v[25:26], v[0:1], v[6:7]
	v_add_f64 v[27:28], v[8:9], v[2:3]
	v_add_f64 v[29:30], v[0:1], -v[6:7]
	v_add_f64 v[0:1], v[2:3], -v[8:9]
	s_waitcnt vmcnt(2)
	s_delay_alu instid0(VALU_DEP_2) | instskip(NEXT) | instid1(VALU_DEP_2)
	v_fma_f64 v[2:3], v[29:30], v[21:22], v[25:26]
	v_fma_f64 v[6:7], v[27:28], v[21:22], v[0:1]
	v_fma_f64 v[8:9], -v[29:30], v[21:22], v[25:26]
	v_fma_f64 v[21:22], v[27:28], v[21:22], -v[0:1]
	s_delay_alu instid0(VALU_DEP_4) | instskip(NEXT) | instid1(VALU_DEP_4)
	v_fma_f64 v[0:1], -v[27:28], v[19:20], v[2:3]
	v_fma_f64 v[2:3], v[29:30], v[19:20], v[6:7]
	s_delay_alu instid0(VALU_DEP_4) | instskip(NEXT) | instid1(VALU_DEP_4)
	v_fma_f64 v[6:7], v[27:28], v[19:20], v[8:9]
	v_fma_f64 v[8:9], v[29:30], v[19:20], v[21:22]
	ds_store_b128 v236, v[0:3] offset:5760
	ds_store_b128 v10, v[6:9] offset:51840
	ds_load_b128 v[0:3], v236 offset:7680
	ds_load_b128 v[6:9], v10 offset:49920
	global_load_b128 v[19:22], v[23:24], off offset:3328
	s_waitcnt lgkmcnt(0)
	v_add_f64 v[23:24], v[0:1], v[6:7]
	v_add_f64 v[25:26], v[8:9], v[2:3]
	v_add_f64 v[27:28], v[0:1], -v[6:7]
	v_add_f64 v[0:1], v[2:3], -v[8:9]
	s_waitcnt vmcnt(2)
	s_delay_alu instid0(VALU_DEP_2) | instskip(NEXT) | instid1(VALU_DEP_2)
	v_fma_f64 v[2:3], v[27:28], v[17:18], v[23:24]
	v_fma_f64 v[6:7], v[25:26], v[17:18], v[0:1]
	v_fma_f64 v[8:9], -v[27:28], v[17:18], v[23:24]
	v_fma_f64 v[17:18], v[25:26], v[17:18], -v[0:1]
	v_add_co_u32 v23, s0, 0x3000, v4
	s_delay_alu instid0(VALU_DEP_1)
	v_add_co_ci_u32_e64 v24, s0, 0, v5, s0
	v_fma_f64 v[0:1], -v[25:26], v[15:16], v[2:3]
	v_fma_f64 v[2:3], v[27:28], v[15:16], v[6:7]
	v_fma_f64 v[6:7], v[25:26], v[15:16], v[8:9]
	v_fma_f64 v[8:9], v[27:28], v[15:16], v[17:18]
	ds_store_b128 v236, v[0:3] offset:7680
	ds_store_b128 v10, v[6:9] offset:49920
	ds_load_b128 v[0:3], v236 offset:9600
	ds_load_b128 v[6:9], v10 offset:48000
	global_load_b128 v[15:18], v[23:24], off offset:1152
	;; [unrolled: 45-line block ×4, first 2 shown]
	s_waitcnt lgkmcnt(0)
	v_add_f64 v[25:26], v[0:1], v[6:7]
	v_add_f64 v[27:28], v[8:9], v[2:3]
	v_add_f64 v[29:30], v[0:1], -v[6:7]
	v_add_f64 v[0:1], v[2:3], -v[8:9]
	s_waitcnt vmcnt(2)
	s_delay_alu instid0(VALU_DEP_2) | instskip(NEXT) | instid1(VALU_DEP_2)
	v_fma_f64 v[2:3], v[29:30], v[21:22], v[25:26]
	v_fma_f64 v[6:7], v[27:28], v[21:22], v[0:1]
	v_fma_f64 v[8:9], -v[29:30], v[21:22], v[25:26]
	v_fma_f64 v[21:22], v[27:28], v[21:22], -v[0:1]
	s_delay_alu instid0(VALU_DEP_4) | instskip(NEXT) | instid1(VALU_DEP_4)
	v_fma_f64 v[0:1], -v[27:28], v[19:20], v[2:3]
	v_fma_f64 v[2:3], v[29:30], v[19:20], v[6:7]
	s_delay_alu instid0(VALU_DEP_4) | instskip(NEXT) | instid1(VALU_DEP_4)
	v_fma_f64 v[6:7], v[27:28], v[19:20], v[8:9]
	v_fma_f64 v[8:9], v[29:30], v[19:20], v[21:22]
	ds_store_b128 v236, v[0:3] offset:17280
	ds_store_b128 v10, v[6:9] offset:40320
	ds_load_b128 v[0:3], v236 offset:19200
	ds_load_b128 v[6:9], v10 offset:38400
	global_load_b128 v[19:22], v[23:24], off offset:2560
	s_waitcnt lgkmcnt(0)
	v_add_f64 v[23:24], v[0:1], v[6:7]
	v_add_f64 v[25:26], v[8:9], v[2:3]
	v_add_f64 v[27:28], v[0:1], -v[6:7]
	v_add_f64 v[0:1], v[2:3], -v[8:9]
	s_waitcnt vmcnt(2)
	s_delay_alu instid0(VALU_DEP_2) | instskip(NEXT) | instid1(VALU_DEP_2)
	v_fma_f64 v[2:3], v[27:28], v[17:18], v[23:24]
	v_fma_f64 v[6:7], v[25:26], v[17:18], v[0:1]
	v_fma_f64 v[8:9], -v[27:28], v[17:18], v[23:24]
	v_fma_f64 v[17:18], v[25:26], v[17:18], -v[0:1]
	v_add_co_u32 v23, s0, 0x6000, v4
	s_delay_alu instid0(VALU_DEP_1)
	v_add_co_ci_u32_e64 v24, s0, 0, v5, s0
	v_cmp_gt_u32_e64 s0, 0x64, v116
	v_fma_f64 v[0:1], -v[25:26], v[15:16], v[2:3]
	v_fma_f64 v[2:3], v[27:28], v[15:16], v[6:7]
	v_fma_f64 v[6:7], v[25:26], v[15:16], v[8:9]
	;; [unrolled: 1-line block ×3, first 2 shown]
	ds_store_b128 v236, v[0:3] offset:19200
	ds_store_b128 v10, v[6:9] offset:38400
	ds_load_b128 v[0:3], v236 offset:21120
	ds_load_b128 v[6:9], v10 offset:36480
	global_load_b128 v[15:18], v[23:24], off offset:384
	s_waitcnt lgkmcnt(0)
	v_add_f64 v[4:5], v[0:1], v[6:7]
	v_add_f64 v[25:26], v[8:9], v[2:3]
	v_add_f64 v[6:7], v[0:1], -v[6:7]
	v_add_f64 v[0:1], v[2:3], -v[8:9]
	s_waitcnt vmcnt(2)
	s_delay_alu instid0(VALU_DEP_2) | instskip(NEXT) | instid1(VALU_DEP_2)
	v_fma_f64 v[2:3], v[6:7], v[13:14], v[4:5]
	v_fma_f64 v[8:9], v[25:26], v[13:14], v[0:1]
	v_fma_f64 v[4:5], -v[6:7], v[13:14], v[4:5]
	v_fma_f64 v[13:14], v[25:26], v[13:14], -v[0:1]
	s_delay_alu instid0(VALU_DEP_4) | instskip(NEXT) | instid1(VALU_DEP_4)
	v_fma_f64 v[0:1], -v[25:26], v[11:12], v[2:3]
	v_fma_f64 v[2:3], v[6:7], v[11:12], v[8:9]
	s_delay_alu instid0(VALU_DEP_4) | instskip(NEXT) | instid1(VALU_DEP_4)
	v_fma_f64 v[4:5], v[25:26], v[11:12], v[4:5]
	v_fma_f64 v[6:7], v[6:7], v[11:12], v[13:14]
	ds_store_b128 v236, v[0:3] offset:21120
	ds_store_b128 v10, v[4:7] offset:36480
	ds_load_b128 v[0:3], v236 offset:23040
	ds_load_b128 v[4:7], v10 offset:34560
	global_load_b128 v[11:14], v[23:24], off offset:2304
	s_waitcnt lgkmcnt(0)
	v_add_f64 v[8:9], v[0:1], v[4:5]
	v_add_f64 v[23:24], v[6:7], v[2:3]
	v_add_f64 v[25:26], v[0:1], -v[4:5]
	v_add_f64 v[0:1], v[2:3], -v[6:7]
	s_waitcnt vmcnt(2)
	s_delay_alu instid0(VALU_DEP_2) | instskip(NEXT) | instid1(VALU_DEP_2)
	v_fma_f64 v[2:3], v[25:26], v[21:22], v[8:9]
	v_fma_f64 v[4:5], v[23:24], v[21:22], v[0:1]
	v_fma_f64 v[6:7], -v[25:26], v[21:22], v[8:9]
	v_fma_f64 v[8:9], v[23:24], v[21:22], -v[0:1]
	s_delay_alu instid0(VALU_DEP_4) | instskip(NEXT) | instid1(VALU_DEP_4)
	v_fma_f64 v[0:1], -v[23:24], v[19:20], v[2:3]
	v_fma_f64 v[2:3], v[25:26], v[19:20], v[4:5]
	s_delay_alu instid0(VALU_DEP_4) | instskip(NEXT) | instid1(VALU_DEP_4)
	v_fma_f64 v[4:5], v[23:24], v[19:20], v[6:7]
	v_fma_f64 v[6:7], v[25:26], v[19:20], v[8:9]
	ds_store_b128 v236, v[0:3] offset:23040
	ds_store_b128 v10, v[4:7] offset:34560
	ds_load_b128 v[0:3], v236 offset:24960
	ds_load_b128 v[4:7], v10 offset:32640
	s_waitcnt lgkmcnt(0)
	v_add_f64 v[8:9], v[0:1], v[4:5]
	v_add_f64 v[19:20], v[6:7], v[2:3]
	v_add_f64 v[21:22], v[0:1], -v[4:5]
	v_add_f64 v[0:1], v[2:3], -v[6:7]
	s_waitcnt vmcnt(1)
	s_delay_alu instid0(VALU_DEP_2) | instskip(NEXT) | instid1(VALU_DEP_2)
	v_fma_f64 v[2:3], v[21:22], v[17:18], v[8:9]
	v_fma_f64 v[4:5], v[19:20], v[17:18], v[0:1]
	v_fma_f64 v[6:7], -v[21:22], v[17:18], v[8:9]
	v_fma_f64 v[8:9], v[19:20], v[17:18], -v[0:1]
	s_delay_alu instid0(VALU_DEP_4) | instskip(NEXT) | instid1(VALU_DEP_4)
	v_fma_f64 v[0:1], -v[19:20], v[15:16], v[2:3]
	v_fma_f64 v[2:3], v[21:22], v[15:16], v[4:5]
	s_delay_alu instid0(VALU_DEP_4) | instskip(NEXT) | instid1(VALU_DEP_4)
	v_fma_f64 v[4:5], v[19:20], v[15:16], v[6:7]
	v_fma_f64 v[6:7], v[21:22], v[15:16], v[8:9]
	ds_store_b128 v236, v[0:3] offset:24960
	ds_store_b128 v10, v[4:7] offset:32640
	ds_load_b128 v[0:3], v236 offset:26880
	ds_load_b128 v[4:7], v10 offset:30720
	s_waitcnt lgkmcnt(0)
	v_add_f64 v[8:9], v[0:1], v[4:5]
	v_add_f64 v[15:16], v[6:7], v[2:3]
	v_add_f64 v[17:18], v[0:1], -v[4:5]
	v_add_f64 v[0:1], v[2:3], -v[6:7]
	s_waitcnt vmcnt(0)
	s_delay_alu instid0(VALU_DEP_2) | instskip(NEXT) | instid1(VALU_DEP_2)
	v_fma_f64 v[2:3], v[17:18], v[13:14], v[8:9]
	v_fma_f64 v[4:5], v[15:16], v[13:14], v[0:1]
	v_fma_f64 v[6:7], -v[17:18], v[13:14], v[8:9]
	v_fma_f64 v[8:9], v[15:16], v[13:14], -v[0:1]
	s_delay_alu instid0(VALU_DEP_4) | instskip(NEXT) | instid1(VALU_DEP_4)
	v_fma_f64 v[0:1], -v[15:16], v[11:12], v[2:3]
	v_fma_f64 v[2:3], v[17:18], v[11:12], v[4:5]
	s_delay_alu instid0(VALU_DEP_4) | instskip(NEXT) | instid1(VALU_DEP_4)
	v_fma_f64 v[4:5], v[15:16], v[11:12], v[6:7]
	v_fma_f64 v[6:7], v[17:18], v[11:12], v[8:9]
	ds_store_b128 v236, v[0:3] offset:26880
	ds_store_b128 v10, v[4:7] offset:30720
	s_waitcnt lgkmcnt(0)
	s_barrier
	buffer_gl0_inv
	s_barrier
	buffer_gl0_inv
	ds_load_b128 v[48:51], v236
	ds_load_b128 v[52:55], v236 offset:1920
	ds_load_b128 v[80:83], v236 offset:11520
	;; [unrolled: 1-line block ×29, first 2 shown]
	s_waitcnt lgkmcnt(26)
	v_add_f64 v[136:137], v[52:53], v[76:77]
	v_add_f64 v[160:161], v[54:55], v[78:79]
	s_waitcnt lgkmcnt(17)
	v_add_f64 v[134:135], v[66:67], v[108:109]
	v_add_f64 v[126:127], v[50:51], v[82:83]
	;; [unrolled: 1-line block ×5, first 2 shown]
	s_waitcnt lgkmcnt(13)
	v_add_f64 v[146:147], v[88:89], v[28:29]
	s_waitcnt lgkmcnt(11)
	v_add_f64 v[154:155], v[106:107], v[20:21]
	v_add_f64 v[162:163], v[108:109], v[22:23]
	;; [unrolled: 1-line block ×5, first 2 shown]
	s_waitcnt lgkmcnt(6)
	v_add_f64 v[117:118], v[210:211], v[94:95]
	v_add_f64 v[174:175], v[80:81], -v[84:85]
	v_add_f64 v[190:191], v[4:5], -v[8:9]
	s_waitcnt lgkmcnt(3)
	v_add_f64 v[182:183], v[148:149], v[44:45]
	s_waitcnt lgkmcnt(2)
	v_add_f64 v[245:246], v[96:97], v[40:41]
	;; [unrolled: 2-line block ×4, first 2 shown]
	v_add_f64 v[142:143], v[86:87], v[10:11]
	v_add_f64 v[220:221], v[82:83], -v[86:87]
	v_add_f64 v[226:227], v[6:7], -v[10:11]
	;; [unrolled: 1-line block ×3, first 2 shown]
	v_add_f64 v[152:153], v[90:91], v[30:31]
	v_add_f64 v[230:231], v[108:109], -v[90:91]
	v_add_f64 v[232:233], v[20:21], -v[28:29]
	;; [unrolled: 1-line block ×3, first 2 shown]
	v_add_f64 v[164:165], v[68:69], v[12:13]
	v_add_f64 v[166:167], v[70:71], v[14:15]
	;; [unrolled: 1-line block ×13, first 2 shown]
	v_add_f64 v[102:103], v[82:83], -v[6:7]
	v_add_f64 v[224:225], v[86:87], -v[82:83]
	v_add_f64 v[82:83], v[90:91], -v[30:31]
	v_add_f64 v[194:195], v[90:91], -v[108:109]
	v_add_f64 v[90:91], v[134:135], v[90:91]
	v_add_f64 v[247:248], v[98:99], v[42:43]
	;; [unrolled: 1-line block ×6, first 2 shown]
	v_add_f64 v[100:101], v[86:87], -v[10:11]
	v_add_f64 v[200:201], v[84:85], -v[80:81]
	;; [unrolled: 1-line block ×10, first 2 shown]
	v_add_f64 v[86:87], v[126:127], v[86:87]
	v_add_f64 v[88:89], v[128:129], v[88:89]
	v_fma_f64 v[126:127], v[140:141], -0.5, v[48:49]
	v_fma_f64 v[128:129], v[144:145], -0.5, v[50:51]
	v_add_f64 v[68:69], v[130:131], -v[36:37]
	v_fma_f64 v[130:131], v[146:147], -0.5, v[64:65]
	v_fma_f64 v[140:141], v[154:155], -0.5, v[64:65]
	;; [unrolled: 1-line block ×5, first 2 shown]
	v_add_f64 v[182:183], v[212:213], v[74:75]
	v_fma_f64 v[144:145], v[245:246], -0.5, v[208:209]
	v_fma_f64 v[156:157], v[249:250], -0.5, v[208:209]
	v_add_f64 v[208:209], v[8:9], -v[4:5]
	v_add_f64 v[212:213], v[117:118], v[98:99]
	v_add_f64 v[117:118], v[28:29], -v[20:21]
	v_add_f64 v[104:105], v[80:81], -v[4:5]
	;; [unrolled: 1-line block ×12, first 2 shown]
	v_add_f64 v[84:85], v[124:125], v[84:85]
	v_fma_f64 v[70:71], v[138:139], -0.5, v[48:49]
	v_fma_f64 v[124:125], v[142:143], -0.5, v[50:51]
	v_add_f64 v[253:254], v[150:151], -v[132:133]
	v_add_f64 v[50:51], v[132:133], -v[38:39]
	v_fma_f64 v[142:143], v[152:153], -0.5, v[66:67]
	v_add_f64 v[48:49], v[74:75], -v[26:27]
	v_add_f64 v[184:185], v[60:61], -v[72:73]
	v_add_f64 v[168:169], v[168:169], v[148:149]
	v_add_f64 v[170:171], v[170:171], v[150:151]
	v_add_f64 v[172:173], v[72:73], -v[60:61]
	v_add_f64 v[176:177], v[62:63], -v[74:75]
	v_fma_f64 v[132:133], v[164:165], -0.5, v[52:53]
	v_fma_f64 v[150:151], v[178:179], -0.5, v[52:53]
	;; [unrolled: 1-line block ×4, first 2 shown]
	v_add_f64 v[178:179], v[74:75], -v[62:63]
	v_add_f64 v[54:55], v[62:63], -v[18:19]
	;; [unrolled: 1-line block ×3, first 2 shown]
	v_fma_f64 v[164:165], v[186:187], -0.5, v[158:159]
	v_fma_f64 v[166:167], v[196:197], -0.5, v[158:159]
	v_add_f64 v[62:63], v[98:99], -v[42:43]
	v_add_f64 v[188:189], v[92:93], -v[96:97]
	v_add_f64 v[180:181], v[198:199], v[72:73]
	v_add_f64 v[186:187], v[96:97], -v[92:93]
	v_fma_f64 v[66:67], v[237:238], -0.5, v[56:57]
	v_fma_f64 v[74:75], v[241:242], -0.5, v[56:57]
	;; [unrolled: 1-line block ×4, first 2 shown]
	v_add_f64 v[198:199], v[94:95], -v[98:99]
	v_add_f64 v[196:197], v[98:99], -v[94:95]
	v_add_f64 v[237:238], v[10:11], -v[6:7]
	v_add_f64 v[98:99], v[92:93], -v[32:33]
	v_add_f64 v[239:240], v[30:31], -v[22:23]
	v_add_f64 v[58:59], v[174:175], v[190:191]
	v_add_f64 v[72:73], v[220:221], v[226:227]
	v_add_f64 v[226:227], v[2:3], -v[14:15]
	v_add_f64 v[92:93], v[228:229], v[232:233]
	v_add_f64 v[228:229], v[36:37], -v[44:45]
	;; [unrolled: 2-line block ×3, first 2 shown]
	v_fma_f64 v[158:159], v[247:248], -0.5, v[210:211]
	v_fma_f64 v[160:161], v[160:161], -0.5, v[210:211]
	v_add_f64 v[210:211], v[251:252], v[96:97]
	v_add_f64 v[232:233], v[12:13], -v[0:1]
	v_add_f64 v[64:65], v[96:97], -v[40:41]
	v_add_f64 v[96:97], v[200:201], v[208:209]
	v_add_f64 v[234:235], v[14:15], -v[2:3]
	v_add_f64 v[200:201], v[192:193], v[117:118]
	v_add_f64 v[117:118], v[44:45], -v[36:37]
	v_add_f64 v[94:95], v[94:95], -v[34:35]
	;; [unrolled: 1-line block ×4, first 2 shown]
	v_add_f64 v[28:29], v[88:89], v[28:29]
	v_add_f64 v[8:9], v[84:85], v[8:9]
	;; [unrolled: 1-line block ×3, first 2 shown]
	v_fma_f64 v[84:85], v[114:115], s[10:11], v[142:143]
	v_fma_f64 v[86:87], v[112:113], s[18:19], v[130:131]
	v_add_f64 v[12:13], v[134:135], v[12:13]
	v_add_f64 v[44:45], v[168:169], v[44:45]
	v_fma_f64 v[134:135], v[110:111], s[18:19], v[146:147]
	v_add_f64 v[60:61], v[60:61], -v[16:17]
	v_fma_f64 v[88:89], v[102:103], s[18:19], v[70:71]
	v_fma_f64 v[168:169], v[100:101], s[10:11], v[126:127]
	;; [unrolled: 1-line block ×5, first 2 shown]
	v_add_f64 v[30:31], v[90:91], v[30:31]
	v_add_f64 v[14:15], v[136:137], v[14:15]
	;; [unrolled: 1-line block ×3, first 2 shown]
	v_add_f64 v[237:238], v[46:47], -v[38:39]
	v_add_f64 v[208:209], v[194:195], v[239:240]
	v_add_f64 v[224:225], v[32:33], -v[40:41]
	v_add_f64 v[46:47], v[170:171], v[46:47]
	v_add_f64 v[194:195], v[222:223], v[226:227]
	v_add_f64 v[226:227], v[34:35], -v[42:43]
	v_add_f64 v[206:207], v[206:207], v[228:229]
	v_add_f64 v[228:229], v[24:25], -v[16:17]
	;; [unrolled: 2-line block ×3, first 2 shown]
	v_add_f64 v[222:223], v[18:19], -v[26:27]
	v_add_f64 v[24:25], v[180:181], v[24:25]
	v_add_f64 v[26:27], v[182:183], v[26:27]
	;; [unrolled: 1-line block ×3, first 2 shown]
	v_add_f64 v[232:233], v[40:41], -v[32:33]
	v_add_f64 v[40:41], v[210:211], v[40:41]
	v_add_f64 v[204:205], v[204:205], v[234:235]
	;; [unrolled: 1-line block ×3, first 2 shown]
	v_add_f64 v[234:235], v[42:43], -v[34:35]
	v_and_b32_e32 v117, 0xff, v116
	v_add_f64 v[42:43], v[212:213], v[42:43]
	v_fma_f64 v[90:91], v[104:105], s[10:11], v[124:125]
	v_fma_f64 v[136:137], v[82:83], s[10:11], v[140:141]
	;; [unrolled: 1-line block ×11, first 2 shown]
	v_mul_lo_u16 v117, 0xcd, v117
	v_add_f64 v[192:193], v[218:219], v[241:242]
	v_add_f64 v[20:21], v[28:29], v[20:21]
	v_fma_f64 v[28:29], v[64:65], s[18:19], v[160:161]
	v_fma_f64 v[160:161], v[64:65], s[10:11], v[160:161]
	;; [unrolled: 1-line block ×3, first 2 shown]
	v_add_f64 v[218:219], v[253:254], v[237:238]
	v_lshrrev_b16 v237, 11, v117
	v_add_f64 v[117:118], v[184:185], v[220:221]
	v_add_f64 v[184:185], v[188:189], v[224:225]
	;; [unrolled: 1-line block ×4, first 2 shown]
	v_fma_f64 v[198:199], v[120:121], s[18:19], v[132:133]
	v_add_f64 v[172:173], v[172:173], v[228:229]
	v_fma_f64 v[132:133], v[120:121], s[10:11], v[132:133]
	v_add_f64 v[178:179], v[178:179], v[230:231]
	v_fma_f64 v[227:228], v[98:99], s[10:11], v[158:159]
	v_fma_f64 v[229:230], v[94:95], s[18:19], v[144:145]
	;; [unrolled: 1-line block ×3, first 2 shown]
	v_add_f64 v[176:177], v[176:177], v[222:223]
	v_fma_f64 v[223:224], v[106:107], s[10:11], v[150:151]
	v_fma_f64 v[225:226], v[108:109], s[18:19], v[152:153]
	;; [unrolled: 1-line block ×4, first 2 shown]
	v_add_f64 v[24:25], v[24:25], v[16:17]
	v_add_f64 v[26:27], v[26:27], v[18:19]
	v_fma_f64 v[16:17], v[110:111], s[2:3], v[84:85]
	v_fma_f64 v[18:19], v[82:83], s[20:21], v[86:87]
	;; [unrolled: 1-line block ×3, first 2 shown]
	v_add_f64 v[6:7], v[10:11], v[6:7]
	v_fma_f64 v[10:11], v[60:61], s[10:11], v[56:57]
	v_fma_f64 v[56:57], v[60:61], s[18:19], v[56:57]
	v_add_f64 v[32:33], v[40:41], v[32:33]
	v_fma_f64 v[40:41], v[100:101], s[20:21], v[88:89]
	v_fma_f64 v[84:85], v[102:103], s[20:21], v[168:169]
	;; [unrolled: 1-line block ×7, first 2 shown]
	v_add_f64 v[4:5], v[8:9], v[4:5]
	v_fma_f64 v[8:9], v[54:55], s[18:19], v[66:67]
	v_fma_f64 v[66:67], v[54:55], s[10:11], v[66:67]
	;; [unrolled: 1-line block ×3, first 2 shown]
	v_add_f64 v[22:23], v[30:31], v[22:23]
	v_fma_f64 v[30:31], v[62:63], s[10:11], v[156:157]
	v_add_f64 v[12:13], v[12:13], v[0:1]
	v_fma_f64 v[0:1], v[48:49], s[10:11], v[74:75]
	v_fma_f64 v[74:75], v[48:49], s[18:19], v[74:75]
	;; [unrolled: 1-line block ×3, first 2 shown]
	v_add_f64 v[38:39], v[46:47], v[38:39]
	v_add_f64 v[34:35], v[42:43], v[34:35]
	v_fma_f64 v[42:43], v[80:81], s[2:3], v[90:91]
	v_fma_f64 v[46:47], v[112:113], s[20:21], v[136:137]
	;; [unrolled: 1-line block ×11, first 2 shown]
	v_add_f64 v[14:15], v[14:15], v[2:3]
	v_fma_f64 v[68:69], v[68:69], s[20:21], v[166:167]
	v_fma_f64 v[154:155], v[50:51], s[10:11], v[154:155]
	;; [unrolled: 1-line block ×8, first 2 shown]
	v_add_f64 v[196:197], v[196:197], v[234:235]
	v_fma_f64 v[28:29], v[98:99], s[2:3], v[28:29]
	v_fma_f64 v[98:99], v[98:99], s[20:21], v[160:161]
	;; [unrolled: 1-line block ×4, first 2 shown]
	v_mul_lo_u16 v119, v237, 10
	v_fma_f64 v[82:83], v[82:83], s[2:3], v[130:131]
	v_fma_f64 v[130:131], v[120:121], s[20:21], v[223:224]
	;; [unrolled: 1-line block ×4, first 2 shown]
	v_sub_nc_u16 v119, v116, v119
	v_fma_f64 v[148:149], v[52:53], s[10:11], v[148:149]
	v_fma_f64 v[140:141], v[52:53], s[2:3], v[10:11]
	;; [unrolled: 1-line block ×4, first 2 shown]
	v_and_b32_e32 v220, 0xff, v119
	v_fma_f64 v[119:120], v[120:121], s[2:3], v[150:151]
	v_fma_f64 v[121:122], v[122:123], s[20:21], v[152:153]
	;; [unrolled: 1-line block ×17, first 2 shown]
	v_add_f64 v[8:9], v[12:13], v[36:37]
	v_add_f64 v[12:13], v[12:13], -v[36:37]
	v_fma_f64 v[36:37], v[218:219], s[6:7], v[126:127]
	v_fma_f64 v[50:51], v[50:51], s[2:3], v[162:163]
	v_add_f64 v[10:11], v[14:15], v[38:39]
	v_add_f64 v[14:15], v[14:15], -v[38:39]
	v_fma_f64 v[38:39], v[218:219], s[6:7], v[68:69]
	v_fma_f64 v[76:77], v[76:77], s[2:3], v[154:155]
	v_add_f64 v[0:1], v[4:5], v[20:21]
	v_add_f64 v[4:5], v[4:5], -v[20:21]
	v_add_f64 v[16:17], v[24:25], v[32:33]
	v_add_f64 v[20:21], v[24:25], -v[32:33]
	v_fma_f64 v[24:25], v[214:215], s[6:7], v[78:79]
	v_fma_f64 v[146:147], v[60:61], s[2:3], v[2:3]
	v_add_f64 v[2:3], v[6:7], v[22:23]
	v_add_f64 v[6:7], v[6:7], -v[22:23]
	v_add_f64 v[18:19], v[26:27], v[34:35]
	v_add_f64 v[22:23], v[26:27], -v[34:35]
	v_fma_f64 v[32:33], v[58:59], s[6:7], v[40:41]
	v_fma_f64 v[26:27], v[188:189], s[6:7], v[132:133]
	;; [unrolled: 1-line block ×3, first 2 shown]
	v_add_f64 v[186:187], v[186:187], v[232:233]
	v_fma_f64 v[28:29], v[196:197], s[6:7], v[28:29]
	v_fma_f64 v[34:35], v[72:73], s[6:7], v[42:43]
	;; [unrolled: 1-line block ×8, first 2 shown]
	v_mul_f64 v[84:85], v[150:151], s[20:21]
	v_mul_f64 v[86:87], v[152:153], s[2:3]
	v_fma_f64 v[88:89], v[96:97], s[6:7], v[88:89]
	v_mul_f64 v[96:97], v[44:45], s[18:19]
	v_mul_f64 v[44:45], v[44:45], s[6:7]
	v_fma_f64 v[98:99], v[200:201], s[6:7], v[104:105]
	v_fma_f64 v[58:59], v[58:59], s[6:7], v[70:71]
	v_mul_f64 v[70:71], v[56:57], s[18:19]
	v_mul_f64 v[56:57], v[56:57], s[14:15]
	v_fma_f64 v[72:73], v[72:73], s[6:7], v[80:81]
	v_fma_f64 v[80:81], v[92:93], s[6:7], v[82:83]
	v_mul_f64 v[82:83], v[66:67], s[20:21]
	v_mul_f64 v[66:67], v[66:67], s[12:13]
	;; [unrolled: 1-line block ×4, first 2 shown]
	v_fma_f64 v[92:93], v[192:193], s[6:7], v[114:115]
	v_fma_f64 v[112:113], v[216:217], s[6:7], v[128:129]
	v_mul_f64 v[114:115], v[36:37], s[18:19]
	v_mul_f64 v[36:37], v[36:37], s[6:7]
	v_fma_f64 v[102:103], v[194:195], s[6:7], v[124:125]
	v_fma_f64 v[50:51], v[216:217], s[6:7], v[50:51]
	v_mul_f64 v[123:124], v[38:39], s[18:19]
	v_mul_f64 v[38:39], v[38:39], s[14:15]
	v_fma_f64 v[76:77], v[206:207], s[6:7], v[76:77]
	v_mul_f64 v[125:126], v[24:25], s[20:21]
	v_mul_f64 v[24:25], v[24:25], s[12:13]
	;; [unrolled: 3-line block ×6, first 2 shown]
	v_fma_f64 v[84:85], v[152:153], s[16:17], v[84:85]
	v_fma_f64 v[86:87], v[150:151], s[16:17], v[86:87]
	;; [unrolled: 1-line block ×39, first 2 shown]
	v_add_f64 v[24:25], v[32:33], v[84:85]
	v_add_f64 v[26:27], v[34:35], v[86:87]
	v_add_f64 v[28:29], v[32:33], -v[84:85]
	v_add_f64 v[30:31], v[34:35], -v[86:87]
	v_add_f64 v[32:33], v[68:69], v[96:97]
	v_add_f64 v[34:35], v[78:79], v[42:43]
	v_add_f64 v[38:39], v[78:79], -v[42:43]
	v_add_f64 v[40:41], v[88:89], v[44:45]
	v_add_f64 v[42:43], v[90:91], v[56:57]
	;; [unrolled: 3-line block ×3, first 2 shown]
	v_add_f64 v[44:45], v[88:89], -v[44:45]
	v_add_f64 v[46:47], v[90:91], -v[56:57]
	;; [unrolled: 1-line block ×4, first 2 shown]
	v_add_f64 v[56:57], v[92:93], v[80:81]
	v_add_f64 v[58:59], v[102:103], v[82:83]
	;; [unrolled: 1-line block ×6, first 2 shown]
	v_add_f64 v[60:61], v[92:93], -v[80:81]
	v_add_f64 v[62:63], v[102:103], -v[82:83]
	v_add_f64 v[80:81], v[98:99], v[125:126]
	v_add_f64 v[82:83], v[106:107], v[146:147]
	v_add_f64 v[68:69], v[129:130], -v[94:95]
	v_add_f64 v[70:71], v[134:135], -v[110:111]
	;; [unrolled: 1-line block ×6, first 2 shown]
	v_add_f64 v[88:89], v[108:109], v[127:128]
	v_add_f64 v[90:91], v[138:139], v[131:132]
	;; [unrolled: 1-line block ×4, first 2 shown]
	v_add_f64 v[102:103], v[104:105], -v[150:151]
	v_add_f64 v[104:105], v[112:113], v[144:145]
	v_add_f64 v[106:107], v[114:115], v[152:153]
	v_add_f64 v[92:93], v[108:109], -v[127:128]
	v_add_f64 v[108:109], v[117:118], v[148:149]
	v_add_f64 v[110:111], v[142:143], v[154:155]
	v_add_f64 v[94:95], v[138:139], -v[131:132]
	v_add_f64 v[100:101], v[100:101], -v[136:137]
	v_mul_u32_u24_e32 v238, 10, v116
	v_mul_u32_u24_e32 v239, 9, v220
	v_add_f64 v[112:113], v[112:113], -v[144:145]
	v_add_f64 v[114:115], v[114:115], -v[152:153]
	;; [unrolled: 1-line block ×4, first 2 shown]
	v_add_nc_u16 v194, v116, 0x78
	v_lshl_add_u32 v117, v238, 4, 0
	v_lshlrev_b32_e32 v118, 4, v239
	s_barrier
	s_delay_alu instid0(VALU_DEP_3)
	v_and_b32_e32 v199, 0xff, v194
	buffer_gl0_inv
	ds_store_b128 v117, v[0:3]
	ds_store_b128 v117, v[24:27] offset:16
	ds_store_b128 v117, v[32:35] offset:32
	;; [unrolled: 1-line block ×29, first 2 shown]
	s_waitcnt lgkmcnt(0)
	s_barrier
	buffer_gl0_inv
	s_clause 0x1
	global_load_b128 v[72:75], v118, s[4:5]
	global_load_b128 v[100:103], v118, s[4:5] offset:16
	v_mul_lo_u16 v0, 0xcd, v199
	s_clause 0x3
	global_load_b128 v[88:91], v118, s[4:5] offset:32
	global_load_b128 v[92:95], v118, s[4:5] offset:48
	;; [unrolled: 1-line block ×4, first 2 shown]
	v_lshrrev_b16 v196, 11, v0
	s_clause 0x1
	global_load_b128 v[112:115], v118, s[4:5] offset:96
	global_load_b128 v[108:111], v118, s[4:5] offset:112
	v_add_nc_u32_e32 v117, 0xf0, v116
	global_load_b128 v[150:153], v118, s[4:5] offset:128
	v_mul_lo_u16 v0, v196, 10
	v_mul_lo_u16 v199, v199, 41
	v_and_b32_e32 v196, 0xffff, v196
	v_lshlrev_b32_e32 v240, 4, v220
	s_delay_alu instid0(VALU_DEP_4) | instskip(NEXT) | instid1(VALU_DEP_1)
	v_sub_nc_u16 v0, v194, v0
	v_and_b32_e32 v195, 0xff, v0
	s_delay_alu instid0(VALU_DEP_1) | instskip(SKIP_1) | instid1(VALU_DEP_2)
	v_mul_u32_u24_e32 v0, 9, v195
	v_lshlrev_b32_e32 v241, 4, v195
	v_lshlrev_b32_e32 v4, 4, v0
	v_and_b32_e32 v0, 0xffff, v117
	s_clause 0x1
	global_load_b128 v[162:165], v4, s[4:5]
	global_load_b128 v[168:171], v4, s[4:5] offset:16
	v_mul_u32_u24_e32 v0, 0xcccd, v0
	s_clause 0x3
	global_load_b128 v[176:179], v4, s[4:5] offset:32
	global_load_b128 v[186:189], v4, s[4:5] offset:48
	;; [unrolled: 1-line block ×4, first 2 shown]
	v_lshrrev_b32_e32 v200, 19, v0
	s_delay_alu instid0(VALU_DEP_1) | instskip(NEXT) | instid1(VALU_DEP_1)
	v_mul_lo_u16 v0, v200, 10
	v_sub_nc_u16 v0, v117, v0
	s_delay_alu instid0(VALU_DEP_1)
	v_and_b32_e32 v197, 0xffff, v0
	s_clause 0x1
	global_load_b128 v[0:3], v4, s[4:5] offset:96
	global_load_b128 v[8:11], v4, s[4:5] offset:112
	v_mul_u32_u24_e32 v5, 9, v197
	v_lshlrev_b32_e32 v197, 4, v197
	s_delay_alu instid0(VALU_DEP_2)
	v_lshlrev_b32_e32 v44, 4, v5
	s_clause 0x9
	global_load_b128 v[4:7], v4, s[4:5] offset:128
	global_load_b128 v[16:19], v44, s[4:5] offset:16
	;; [unrolled: 1-line block ×5, first 2 shown]
	global_load_b128 v[40:43], v44, s[4:5]
	global_load_b128 v[36:39], v44, s[4:5] offset:32
	global_load_b128 v[32:35], v44, s[4:5] offset:64
	global_load_b128 v[28:31], v44, s[4:5] offset:96
	global_load_b128 v[44:47], v44, s[4:5] offset:128
	ds_load_b128 v[120:123], v236 offset:5760
	ds_load_b128 v[124:127], v236 offset:11520
	;; [unrolled: 1-line block ×20, first 2 shown]
	s_waitcnt vmcnt(26) lgkmcnt(19)
	v_mul_f64 v[118:119], v[122:123], v[74:75]
	v_mul_f64 v[74:75], v[120:121], v[74:75]
	s_waitcnt vmcnt(25) lgkmcnt(18)
	v_mul_f64 v[136:137], v[126:127], v[102:103]
	v_mul_f64 v[102:103], v[124:125], v[102:103]
	;; [unrolled: 3-line block ×4, first 2 shown]
	s_waitcnt vmcnt(22) lgkmcnt(15)
	v_mul_f64 v[217:218], v[140:141], v[106:107]
	s_waitcnt vmcnt(21) lgkmcnt(13)
	v_mul_f64 v[221:222], v[148:149], v[98:99]
	s_waitcnt vmcnt(20) lgkmcnt(11)
	v_mul_f64 v[223:224], v[156:157], v[114:115]
	s_waitcnt vmcnt(19) lgkmcnt(9)
	v_mul_f64 v[227:228], v[160:161], v[110:111]
	v_mul_f64 v[106:107], v[138:139], v[106:107]
	v_mul_f64 v[98:99], v[146:147], v[98:99]
	;; [unrolled: 1-line block ×4, first 2 shown]
	s_waitcnt vmcnt(17) lgkmcnt(5)
	v_mul_f64 v[231:232], v[182:183], v[164:165]
	v_fma_f64 v[144:145], v[120:121], v[72:73], v[118:119]
	v_mul_f64 v[118:119], v[174:175], v[152:153]
	v_mul_f64 v[152:153], v[172:173], v[152:153]
	;; [unrolled: 1-line block ×3, first 2 shown]
	v_fma_f64 v[142:143], v[122:123], v[72:73], -v[74:75]
	ds_load_b128 v[209:212], v236 offset:19200
	ds_load_b128 v[72:75], v236 offset:21120
	v_fma_f64 v[122:123], v[124:125], v[100:101], v[136:137]
	v_fma_f64 v[124:125], v[126:127], v[100:101], -v[102:103]
	v_fma_f64 v[128:129], v[128:129], v[88:89], v[166:167]
	v_fma_f64 v[126:127], v[130:131], v[88:89], -v[90:91]
	ds_load_b128 v[213:216], v236 offset:30720
	ds_load_b128 v[88:91], v236 offset:32640
	s_waitcnt vmcnt(16)
	v_mul_f64 v[238:239], v[192:193], v[170:171]
	v_fma_f64 v[136:137], v[132:133], v[92:93], v[184:185]
	v_fma_f64 v[130:131], v[134:135], v[92:93], -v[94:95]
	ds_load_b128 v[100:103], v236 offset:42240
	ds_load_b128 v[92:95], v236 offset:44160
	v_mul_f64 v[170:171], v[190:191], v[170:171]
	v_fma_f64 v[134:135], v[138:139], v[104:105], v[217:218]
	v_fma_f64 v[138:139], v[146:147], v[96:97], v[221:222]
	s_waitcnt vmcnt(14)
	v_mul_f64 v[221:222], v[207:208], v[188:189]
	v_fma_f64 v[120:121], v[154:155], v[112:113], v[223:224]
	s_waitcnt vmcnt(12) lgkmcnt(10)
	v_mul_f64 v[154:155], v[82:83], v[14:15]
	v_fma_f64 v[110:111], v[158:159], v[108:109], v[227:228]
	s_waitcnt vmcnt(10) lgkmcnt(8)
	v_mul_f64 v[158:159], v[86:87], v[10:11]
	v_fma_f64 v[132:133], v[140:141], v[104:105], -v[106:107]
	ds_load_b128 v[104:107], v236 offset:53760
	s_waitcnt lgkmcnt(6)
	v_mul_f64 v[217:218], v[211:212], v[178:179]
	v_mul_f64 v[178:179], v[209:210], v[178:179]
	v_fma_f64 v[114:115], v[148:149], v[96:97], -v[98:99]
	ds_load_b128 v[96:99], v236 offset:55680
	v_mul_f64 v[188:189], v[205:206], v[188:189]
	v_fma_f64 v[112:113], v[156:157], v[112:113], -v[225:226]
	v_mul_f64 v[156:157], v[80:81], v[14:15]
	v_fma_f64 v[14:15], v[160:161], v[108:109], -v[229:230]
	s_waitcnt lgkmcnt(3)
	v_mul_f64 v[146:147], v[102:103], v[2:3]
	v_mul_f64 v[148:149], v[100:101], v[2:3]
	;; [unrolled: 1-line block ×3, first 2 shown]
	s_waitcnt vmcnt(8)
	v_mul_f64 v[164:165], v[58:59], v[18:19]
	v_mul_f64 v[166:167], v[56:57], v[18:19]
	v_fma_f64 v[140:141], v[180:181], v[162:163], v[231:232]
	v_fma_f64 v[10:11], v[172:173], v[150:151], v[118:119]
	v_fma_f64 v[2:3], v[174:175], v[150:151], -v[152:153]
	v_fma_f64 v[108:109], v[182:183], v[162:163], -v[233:234]
	s_waitcnt vmcnt(7)
	v_mul_f64 v[172:173], v[62:63], v[22:23]
	v_mul_f64 v[174:175], v[60:61], v[22:23]
	s_waitcnt vmcnt(6)
	v_mul_f64 v[180:181], v[70:71], v[26:27]
	s_waitcnt vmcnt(5)
	v_mul_f64 v[182:183], v[78:79], v[50:51]
	v_mul_f64 v[184:185], v[68:69], v[26:27]
	s_waitcnt lgkmcnt(1)
	v_mul_f64 v[150:151], v[106:107], v[6:7]
	v_mul_f64 v[152:153], v[104:105], v[6:7]
	v_fma_f64 v[6:7], v[190:191], v[168:169], v[238:239]
	v_mul_f64 v[190:191], v[76:77], v[50:51]
	v_add_nc_u32_e32 v118, 0xffffff9c, v116
	s_waitcnt vmcnt(4)
	v_mul_f64 v[50:51], v[66:67], v[42:43]
	v_fma_f64 v[18:19], v[192:193], v[168:169], -v[170:171]
	s_waitcnt vmcnt(3)
	v_mul_f64 v[168:169], v[74:75], v[38:39]
	v_mul_f64 v[170:171], v[72:73], v[38:39]
	v_fma_f64 v[22:23], v[205:206], v[186:187], v[221:222]
	s_waitcnt vmcnt(0) lgkmcnt(0)
	v_mul_f64 v[192:193], v[98:99], v[46:47]
	v_mul_f64 v[46:47], v[96:97], v[46:47]
	v_cndmask_b32_e64 v198, v118, v116, s0
	v_fma_f64 v[118:119], v[80:81], v[12:13], v[154:155]
	v_fma_f64 v[84:85], v[84:85], v[8:9], v[158:159]
	v_mul_f64 v[223:224], v[215:216], v[203:204]
	v_mul_f64 v[162:163], v[64:65], v[42:43]
	v_fma_f64 v[42:43], v[209:210], v[176:177], v[217:218]
	v_fma_f64 v[26:27], v[211:212], v[176:177], -v[178:179]
	v_mul_f64 v[176:177], v[90:91], v[34:35]
	v_mul_f64 v[178:179], v[88:89], v[34:35]
	v_fma_f64 v[34:35], v[207:208], v[186:187], -v[188:189]
	v_mul_f64 v[186:187], v[94:95], v[30:31]
	v_fma_f64 v[12:13], v[82:83], v[12:13], -v[156:157]
	v_mul_f64 v[188:189], v[92:93], v[30:31]
	v_mul_f64 v[203:204], v[213:214], v[203:204]
	v_fma_f64 v[8:9], v[86:87], v[8:9], -v[160:161]
	v_fma_f64 v[56:57], v[56:57], v[16:17], v[164:165]
	v_fma_f64 v[16:17], v[58:59], v[16:17], -v[166:167]
	v_add_f64 v[86:87], v[124:125], v[14:15]
	v_add_f64 v[158:159], v[136:137], -v[122:123]
	v_add_f64 v[160:161], v[138:139], -v[110:111]
	ds_load_b128 v[80:83], v236
	ds_load_b128 v[154:157], v236 offset:1920
	v_fma_f64 v[58:59], v[60:61], v[20:21], v[172:173]
	v_fma_f64 v[20:21], v[62:63], v[20:21], -v[174:175]
	v_fma_f64 v[60:61], v[68:69], v[24:25], v[180:181]
	v_fma_f64 v[62:63], v[76:77], v[48:49], v[182:183]
	v_fma_f64 v[24:25], v[70:71], v[24:25], -v[184:185]
	v_fma_f64 v[68:69], v[100:101], v[0:1], v[146:147]
	v_fma_f64 v[0:1], v[102:103], v[0:1], -v[148:149]
	v_add_f64 v[76:77], v[122:123], v[110:111]
	v_fma_f64 v[48:49], v[78:79], v[48:49], -v[190:191]
	v_fma_f64 v[70:71], v[104:105], v[4:5], v[150:151]
	v_fma_f64 v[50:51], v[64:65], v[40:41], v[50:51]
	v_fma_f64 v[4:5], v[106:107], v[4:5], -v[152:153]
	v_fma_f64 v[64:65], v[72:73], v[36:37], v[168:169]
	v_fma_f64 v[36:37], v[74:75], v[36:37], -v[170:171]
	v_add_f64 v[170:171], v[130:131], -v[124:125]
	v_fma_f64 v[74:75], v[96:97], v[44:45], v[192:193]
	v_fma_f64 v[44:45], v[98:99], v[44:45], -v[46:47]
	v_add_f64 v[46:47], v[136:137], v[138:139]
	v_add_f64 v[146:147], v[22:23], v[118:119]
	;; [unrolled: 1-line block ×3, first 2 shown]
	v_fma_f64 v[38:39], v[213:214], v[201:202], v[223:224]
	v_fma_f64 v[40:41], v[66:67], v[40:41], -v[162:163]
	v_add_f64 v[172:173], v[114:115], -v[14:15]
	v_add_f64 v[174:175], v[134:135], -v[128:129]
	v_fma_f64 v[66:67], v[88:89], v[32:33], v[176:177]
	v_fma_f64 v[32:33], v[90:91], v[32:33], -v[178:179]
	v_add_f64 v[176:177], v[120:121], -v[10:11]
	v_fma_f64 v[72:73], v[92:93], v[28:29], v[186:187]
	v_add_f64 v[150:151], v[34:35], v[12:13]
	v_fma_f64 v[28:29], v[94:95], v[28:29], -v[188:189]
	v_add_f64 v[178:179], v[132:133], -v[126:127]
	v_add_f64 v[152:153], v[18:19], v[8:9]
	v_add_f64 v[180:181], v[112:113], -v[2:3]
	v_add_f64 v[188:189], v[6:7], -v[22:23]
	;; [unrolled: 1-line block ×3, first 2 shown]
	v_fma_f64 v[30:31], v[215:216], v[201:202], -v[203:204]
	v_add_f64 v[92:93], v[122:123], -v[136:137]
	v_add_f64 v[94:95], v[110:111], -v[138:139]
	v_add_f64 v[78:79], v[130:131], v[114:115]
	s_waitcnt lgkmcnt(1)
	v_add_f64 v[88:89], v[80:81], v[122:123]
	v_add_f64 v[162:163], v[58:59], v[60:61]
	;; [unrolled: 1-line block ×4, first 2 shown]
	s_waitcnt lgkmcnt(0)
	v_add_f64 v[182:183], v[154:155], v[6:7]
	v_add_f64 v[184:185], v[156:157], v[18:19]
	v_fma_f64 v[76:77], v[76:77], -0.5, v[80:81]
	v_add_f64 v[168:169], v[16:17], v[48:49]
	v_add_f64 v[186:187], v[52:53], v[56:57]
	v_add_f64 v[192:193], v[18:19], -v[34:35]
	v_add_f64 v[201:202], v[8:9], -v[12:13]
	;; [unrolled: 1-line block ×7, first 2 shown]
	v_fma_f64 v[46:47], v[46:47], -0.5, v[80:81]
	v_fma_f64 v[80:81], v[86:87], -0.5, v[82:83]
	v_add_f64 v[86:87], v[16:17], -v[20:21]
	v_fma_f64 v[146:147], v[146:147], -0.5, v[154:155]
	v_fma_f64 v[148:149], v[148:149], -0.5, v[154:155]
	v_add_f64 v[154:155], v[48:49], -v[24:25]
	v_add_f64 v[203:204], v[42:43], -v[38:39]
	v_add_f64 v[233:234], v[132:133], v[112:113]
	v_add_f64 v[158:159], v[158:159], v[160:161]
	;; [unrolled: 1-line block ×3, first 2 shown]
	v_add_f64 v[100:101], v[128:129], -v[134:135]
	v_fma_f64 v[150:151], v[150:151], -0.5, v[156:157]
	v_add_f64 v[102:103], v[10:11], -v[120:121]
	v_add_f64 v[104:105], v[126:127], -v[132:133]
	v_fma_f64 v[152:153], v[152:153], -0.5, v[156:157]
	v_add_f64 v[156:157], v[64:65], -v[66:67]
	v_add_f64 v[106:107], v[2:3], -v[112:113]
	v_add_f64 v[170:171], v[170:171], v[172:173]
	v_add_f64 v[172:173], v[58:59], -v[56:57]
	v_add_f64 v[174:175], v[174:175], v[176:177]
	;; [unrolled: 2-line block ×3, first 2 shown]
	v_add_f64 v[180:181], v[20:21], -v[16:17]
	v_fma_f64 v[162:163], v[162:163], -0.5, v[52:53]
	v_fma_f64 v[52:53], v[164:165], -0.5, v[52:53]
	;; [unrolled: 1-line block ×3, first 2 shown]
	v_add_f64 v[166:167], v[74:75], -v[72:73]
	v_add_f64 v[188:189], v[188:189], v[190:191]
	v_add_f64 v[190:191], v[24:25], -v[48:49]
	v_add_f64 v[207:208], v[26:27], -v[30:31]
	;; [unrolled: 1-line block ×5, first 2 shown]
	v_add_f64 v[229:230], v[54:55], v[16:17]
	v_fma_f64 v[54:55], v[168:169], -0.5, v[54:55]
	v_add_f64 v[168:169], v[36:37], -v[32:33]
	v_add_f64 v[92:93], v[92:93], v[94:95]
	v_add_f64 v[94:95], v[44:45], -v[28:29]
	v_add_f64 v[225:226], v[30:31], -v[26:27]
	;; [unrolled: 1-line block ×3, first 2 shown]
	v_add_f64 v[90:91], v[82:83], v[124:125]
	v_add_f64 v[231:232], v[56:57], -v[58:59]
	v_fma_f64 v[78:79], v[78:79], -0.5, v[82:83]
	v_add_f64 v[82:83], v[62:63], -v[60:61]
	v_add_f64 v[221:222], v[38:39], -v[42:43]
	;; [unrolled: 1-line block ×3, first 2 shown]
	v_add_f64 v[86:87], v[86:87], v[154:155]
	v_add_f64 v[154:155], v[144:145], v[128:129]
	v_add_f64 v[192:193], v[192:193], v[201:202]
	v_add_f64 v[201:202], v[66:67], -v[64:65]
	v_add_f64 v[203:204], v[203:204], v[205:206]
	v_add_f64 v[205:206], v[72:73], -v[74:75]
	v_add_f64 v[215:216], v[215:216], v[217:218]
	v_add_f64 v[217:218], v[38:39], v[68:69]
	;; [unrolled: 1-line block ×6, first 2 shown]
	v_fma_f64 v[233:234], v[233:234], -0.5, v[142:143]
	v_add_f64 v[100:101], v[100:101], v[102:103]
	v_add_f64 v[106:107], v[104:105], v[106:107]
	v_mov_b32_e32 v104, 0
	v_mul_i32_i24_e32 v103, 5, v198
	v_and_b32_e32 v102, 0xffff, v237
	v_add_f64 v[156:157], v[156:157], v[166:167]
	v_add_f64 v[166:167], v[142:143], v[126:127]
	v_fma_f64 v[142:143], v[160:161], -0.5, v[142:143]
	v_add_f64 v[160:161], v[108:109], v[26:27]
	v_add_f64 v[172:173], v[172:173], v[176:177]
	v_lshlrev_b64 v[176:177], 4, v[103:104]
	v_mul_u32_u24_e32 v235, 0x640, v102
	v_add_f64 v[102:103], v[180:181], v[190:191]
	v_add_f64 v[180:181], v[50:51], v[64:65]
	;; [unrolled: 1-line block ×3, first 2 shown]
	v_add_f64 v[209:210], v[32:33], -v[36:37]
	v_add_f64 v[211:212], v[211:212], v[213:214]
	v_add_f64 v[213:214], v[28:29], -v[44:45]
	v_add_f64 v[94:95], v[168:169], v[94:95]
	v_add_f64 v[168:169], v[140:141], v[42:43]
	;; [unrolled: 1-line block ×10, first 2 shown]
	v_lshrrev_b16 v105, 12, v199
	v_mul_u32_u24_e32 v237, 0x640, v200
	v_add_f64 v[190:191], v[201:202], v[205:206]
	v_add_f64 v[199:200], v[40:41], v[36:37]
	v_fma_f64 v[205:206], v[217:218], -0.5, v[140:141]
	v_add_f64 v[217:218], v[32:33], v[28:29]
	v_fma_f64 v[98:99], v[98:99], -0.5, v[144:145]
	v_fma_f64 v[144:145], v[238:239], -0.5, v[144:145]
	v_add_f64 v[136:137], v[136:137], -v[138:139]
	v_add_f64 v[88:89], v[88:89], v[138:139]
	v_add_f64 v[138:139], v[36:37], v[44:45]
	;; [unrolled: 1-line block ×3, first 2 shown]
	v_add_f64 v[128:129], v[128:129], -v[10:11]
	v_add_f64 v[124:125], v[124:125], -v[14:15]
	;; [unrolled: 1-line block ×3, first 2 shown]
	v_add_f64 v[186:187], v[186:187], v[58:59]
	v_add_f64 v[166:167], v[166:167], v[132:133]
	v_add_f64 v[132:133], v[132:133], -v[112:113]
	v_add_f64 v[160:161], v[160:161], v[30:31]
	v_mul_u32_u24_e32 v239, 0x640, v196
	v_add_f64 v[201:202], v[66:67], v[72:73]
	v_add_f64 v[130:131], v[130:131], -v[114:115]
	v_add_f64 v[134:135], v[134:135], -v[120:121]
	v_add_f64 v[180:181], v[180:181], v[66:67]
	v_add_f64 v[184:185], v[184:185], v[34:35]
	v_add_f64 v[42:43], v[42:43], -v[70:71]
	v_add_f64 v[219:220], v[229:230], v[20:21]
	v_add_f64 v[195:196], v[209:210], v[213:214]
	;; [unrolled: 1-line block ×4, first 2 shown]
	v_add_f64 v[38:39], v[38:39], -v[68:69]
	v_fma_f64 v[213:214], v[227:228], -0.5, v[108:109]
	v_add_f64 v[30:31], v[30:31], -v[0:1]
	v_fma_f64 v[108:109], v[231:232], -0.5, v[108:109]
	;; [unrolled: 2-line block ×3, first 2 shown]
	v_add_f64 v[22:23], v[22:23], -v[118:119]
	v_add_f64 v[90:91], v[90:91], v[114:115]
	v_add_f64 v[120:121], v[154:155], v[120:121]
	v_add_f64 v[6:7], v[6:7], -v[84:85]
	v_add_f64 v[64:65], v[64:65], -v[74:75]
	v_add_f64 v[126:127], v[126:127], -v[2:3]
	v_add_f64 v[199:200], v[199:200], v[32:33]
	v_fma_f64 v[154:155], v[217:218], -0.5, v[40:41]
	v_add_f64 v[66:67], v[66:67], -v[72:73]
	v_add_f64 v[20:21], v[20:21], -v[24:25]
	;; [unrolled: 1-line block ×4, first 2 shown]
	v_fma_f64 v[40:41], v[138:139], -0.5, v[40:41]
	v_add_f64 v[118:119], v[182:183], v[118:119]
	v_fma_f64 v[182:183], v[128:129], s[10:11], v[233:234]
	v_add_f64 v[32:33], v[32:33], -v[28:29]
	v_add_f64 v[56:57], v[56:57], -v[62:63]
	v_add_f64 v[60:61], v[186:187], v[60:61]
	v_add_f64 v[112:113], v[166:167], v[112:113]
	v_fma_f64 v[186:187], v[124:125], s[18:19], v[46:47]
	v_add_f64 v[0:1], v[160:161], v[0:1]
	v_fma_f64 v[160:161], v[132:133], s[10:11], v[144:145]
	v_fma_f64 v[144:145], v[132:133], s[18:19], v[144:145]
	;; [unrolled: 1-line block ×3, first 2 shown]
	v_fma_f64 v[114:115], v[201:202], -0.5, v[50:51]
	v_add_f64 v[72:73], v[180:181], v[72:73]
	v_fma_f64 v[180:181], v[122:123], s[10:11], v[78:79]
	v_fma_f64 v[78:79], v[122:123], s[18:19], v[78:79]
	;; [unrolled: 1-line block ×4, first 2 shown]
	v_fma_f64 v[50:51], v[209:210], -0.5, v[50:51]
	v_add_f64 v[12:13], v[184:185], v[12:13]
	v_add_f64 v[68:69], v[168:169], v[68:69]
	v_fma_f64 v[168:169], v[134:135], s[18:19], v[142:143]
	v_fma_f64 v[142:143], v[134:135], s[10:11], v[142:143]
	;; [unrolled: 1-line block ×3, first 2 shown]
	v_add_f64 v[18:19], v[18:19], -v[8:9]
	v_add_f64 v[26:27], v[26:27], -v[4:5]
	v_fma_f64 v[201:202], v[42:43], s[10:11], v[213:214]
	v_add_f64 v[24:25], v[219:220], v[24:25]
	v_fma_f64 v[223:224], v[38:39], s[18:19], v[108:109]
	v_add_f64 v[88:89], v[88:89], v[110:111]
	;; [unrolled: 2-line block ×4, first 2 shown]
	v_fma_f64 v[120:121], v[22:23], s[18:19], v[152:153]
	v_fma_f64 v[148:149], v[34:35], s[18:19], v[148:149]
	;; [unrolled: 1-line block ×6, first 2 shown]
	v_add_f64 v[28:29], v[199:200], v[28:29]
	v_fma_f64 v[199:200], v[126:127], s[18:19], v[98:99]
	v_fma_f64 v[98:99], v[126:127], s[10:11], v[98:99]
	;; [unrolled: 1-line block ×3, first 2 shown]
	v_add_f64 v[112:113], v[112:113], v[2:3]
	v_fma_f64 v[2:3], v[64:65], s[10:11], v[154:155]
	v_fma_f64 v[154:155], v[64:65], s[18:19], v[154:155]
	;; [unrolled: 1-line block ×6, first 2 shown]
	v_add_f64 v[16:17], v[16:17], -v[48:49]
	v_fma_f64 v[166:167], v[136:137], s[18:19], v[80:81]
	v_fma_f64 v[80:81], v[136:137], s[10:11], v[80:81]
	;; [unrolled: 1-line block ×21, first 2 shown]
	v_add_f64 v[84:85], v[118:119], v[84:85]
	v_add_f64 v[118:119], v[12:13], v[8:9]
	v_fma_f64 v[8:9], v[38:39], s[2:3], v[201:202]
	v_add_f64 v[24:25], v[24:25], v[48:49]
	v_add_f64 v[48:49], v[72:73], v[74:75]
	v_fma_f64 v[72:73], v[42:43], s[2:3], v[223:224]
	v_fma_f64 v[146:147], v[18:19], s[10:11], v[146:147]
	;; [unrolled: 1-line block ×10, first 2 shown]
	v_add_f64 v[12:13], v[68:69], v[70:71]
	v_fma_f64 v[70:71], v[22:23], s[2:3], v[219:220]
	v_fma_f64 v[42:43], v[22:23], s[20:21], v[150:151]
	;; [unrolled: 1-line block ×9, first 2 shown]
	v_add_f64 v[68:69], v[0:1], v[4:5]
	v_fma_f64 v[64:65], v[16:17], s[20:21], v[130:131]
	v_fma_f64 v[130:131], v[56:57], s[2:3], v[136:137]
	;; [unrolled: 1-line block ×4, first 2 shown]
	v_add_f64 v[28:29], v[28:29], v[44:45]
	v_fma_f64 v[124:125], v[58:59], s[2:3], v[142:143]
	v_fma_f64 v[166:167], v[122:123], s[2:3], v[166:167]
	;; [unrolled: 1-line block ×12, first 2 shown]
	v_add_f64 v[60:61], v[60:61], v[62:63]
	v_fma_f64 v[62:63], v[34:35], s[20:21], v[217:218]
	v_add_f64 v[0:1], v[88:89], v[10:11]
	v_add_f64 v[4:5], v[88:89], -v[10:11]
	v_fma_f64 v[88:89], v[106:107], s[6:7], v[134:135]
	v_fma_f64 v[44:45], v[30:31], s[20:21], v[209:210]
	;; [unrolled: 1-line block ×12, first 2 shown]
	v_add_f64 v[2:3], v[14:15], v[112:113]
	v_add_f64 v[6:7], v[14:15], -v[112:113]
	v_fma_f64 v[112:113], v[92:93], s[6:7], v[186:187]
	v_fma_f64 v[92:93], v[92:93], s[6:7], v[46:47]
	;; [unrolled: 1-line block ×7, first 2 shown]
	v_add_f64 v[8:9], v[84:85], v[12:13]
	v_add_f64 v[10:11], v[118:119], v[68:69]
	v_add_f64 v[12:13], v[84:85], -v[12:13]
	v_add_f64 v[14:15], v[118:119], -v[68:69]
	v_mul_f64 v[68:69], v[136:137], s[20:21]
	v_mul_f64 v[84:85], v[136:137], s[16:17]
	v_fma_f64 v[144:145], v[174:175], s[6:7], v[160:161]
	v_mul_f64 v[94:95], v[50:51], s[18:19]
	v_mul_f64 v[50:51], v[50:51], s[6:7]
	v_fma_f64 v[126:127], v[174:175], s[6:7], v[126:127]
	v_add_f64 v[18:19], v[24:25], v[28:29]
	v_add_f64 v[22:23], v[24:25], -v[28:29]
	v_mul_f64 v[24:25], v[114:115], s[18:19]
	v_mul_f64 v[28:29], v[114:115], s[14:15]
	v_fma_f64 v[122:123], v[20:21], s[20:21], v[122:123]
	v_fma_f64 v[52:53], v[16:17], s[2:3], v[52:53]
	;; [unrolled: 1-line block ×4, first 2 shown]
	v_add_f64 v[16:17], v[60:61], v[48:49]
	v_add_f64 v[20:21], v[60:61], -v[48:49]
	v_fma_f64 v[60:61], v[188:189], s[6:7], v[62:63]
	v_mul_f64 v[48:49], v[88:89], s[20:21]
	v_mul_f64 v[62:63], v[88:89], s[12:13]
	v_fma_f64 v[44:45], v[203:204], s[6:7], v[44:45]
	v_mul_f64 v[88:89], v[128:129], s[20:21]
	v_mul_f64 v[100:101], v[128:129], s[16:17]
	;; [unrolled: 3-line block ×4, first 2 shown]
	v_fma_f64 v[34:35], v[34:35], s[2:3], v[146:147]
	v_fma_f64 v[58:59], v[58:59], s[20:21], v[164:165]
	;; [unrolled: 1-line block ×3, first 2 shown]
	v_mul_f64 v[140:141], v[38:39], s[20:21]
	v_mul_f64 v[38:39], v[38:39], s[12:13]
	v_fma_f64 v[108:109], v[156:157], s[6:7], v[108:109]
	v_fma_f64 v[118:119], v[190:191], s[6:7], v[142:143]
	v_mul_f64 v[142:143], v[96:97], s[20:21]
	v_mul_f64 v[96:97], v[96:97], s[16:17]
	;; [unrolled: 1-line block ×4, first 2 shown]
	v_fma_f64 v[36:37], v[190:191], s[6:7], v[36:37]
	v_mul_f64 v[150:151], v[40:41], s[18:19]
	v_mul_f64 v[40:41], v[40:41], s[14:15]
	v_fma_f64 v[32:33], v[156:157], s[6:7], v[32:33]
	v_mul_f64 v[152:153], v[66:67], s[20:21]
	v_mul_f64 v[66:67], v[66:67], s[12:13]
	v_fma_f64 v[68:69], v[106:107], s[16:17], v[68:69]
	v_fma_f64 v[84:85], v[106:107], s[2:3], v[84:85]
	;; [unrolled: 1-line block ×43, first 2 shown]
	v_add_f64 v[24:25], v[112:113], v[68:69]
	v_add_f64 v[26:27], v[134:135], v[84:85]
	;; [unrolled: 1-line block ×4, first 2 shown]
	v_add_f64 v[38:39], v[146:147], -v[50:51]
	v_add_f64 v[28:29], v[112:113], -v[68:69]
	v_add_f64 v[40:41], v[76:77], v[132:133]
	v_add_f64 v[42:43], v[80:81], v[126:127]
	;; [unrolled: 1-line block ×4, first 2 shown]
	v_add_f64 v[30:31], v[134:135], -v[84:85]
	v_add_f64 v[36:37], v[138:139], -v[94:95]
	v_add_f64 v[44:45], v[76:77], -v[132:133]
	v_add_f64 v[46:47], v[80:81], -v[126:127]
	v_add_f64 v[52:53], v[92:93], -v[156:157]
	v_add_f64 v[54:55], v[78:79], -v[62:63]
	v_add_f64 v[56:57], v[60:61], v[88:89]
	v_add_f64 v[58:59], v[70:71], v[100:101]
	;; [unrolled: 1-line block ×4, first 2 shown]
	v_add_f64 v[62:63], v[70:71], -v[100:101]
	v_add_f64 v[70:71], v[106:107], -v[72:73]
	v_add_f64 v[72:73], v[110:111], v[102:103]
	v_add_f64 v[74:75], v[120:121], v[128:129]
	;; [unrolled: 1-line block ×4, first 2 shown]
	v_add_f64 v[60:61], v[60:61], -v[88:89]
	v_add_f64 v[68:69], v[90:91], -v[114:115]
	v_add_f64 v[76:77], v[110:111], -v[102:103]
	v_add_f64 v[78:79], v[120:121], -v[128:129]
	v_add_f64 v[84:85], v[144:145], -v[86:87]
	v_add_f64 v[86:87], v[154:155], -v[140:141]
	v_add_f64 v[88:89], v[122:123], v[142:143]
	v_add_f64 v[90:91], v[124:125], v[96:97]
	v_add_f64 v[94:95], v[124:125], -v[96:97]
	v_add_f64 v[96:97], v[158:159], v[108:109]
	v_add_f64 v[98:99], v[130:131], v[118:119]
	v_add_f64 v[100:101], v[158:159], -v[108:109]
	v_add_f64 v[106:107], v[160:161], v[148:149]
	v_add_f64 v[108:109], v[162:163], v[150:151]
	;; [unrolled: 1-line block ×4, first 2 shown]
	v_add_f64 v[92:93], v[122:123], -v[142:143]
	v_add_f64 v[102:103], v[130:131], -v[118:119]
	;; [unrolled: 1-line block ×6, first 2 shown]
	v_add3_u32 v118, 0, v235, v240
	v_mul_lo_u16 v238, 0x64, v105
	v_add3_u32 v119, 0, v239, v241
	v_add3_u32 v128, 0, v237, v197
	s_barrier
	buffer_gl0_inv
	ds_store_b128 v118, v[0:3]
	ds_store_b128 v118, v[24:27] offset:160
	ds_store_b128 v118, v[32:35] offset:320
	ds_store_b128 v118, v[40:43] offset:480
	ds_store_b128 v118, v[4:7] offset:800
	ds_store_b128 v118, v[48:51] offset:640
	ds_store_b128 v118, v[28:31] offset:960
	ds_store_b128 v118, v[36:39] offset:1120
	ds_store_b128 v118, v[44:47] offset:1280
	ds_store_b128 v118, v[52:55] offset:1440
	ds_store_b128 v119, v[8:11]
	ds_store_b128 v119, v[56:59] offset:160
	ds_store_b128 v119, v[64:67] offset:320
	ds_store_b128 v119, v[72:75] offset:480
	ds_store_b128 v119, v[80:83] offset:640
	ds_store_b128 v119, v[12:15] offset:800
	ds_store_b128 v119, v[60:63] offset:960
	ds_store_b128 v119, v[68:71] offset:1120
	ds_store_b128 v119, v[76:79] offset:1280
	ds_store_b128 v119, v[84:87] offset:1440
	;; [unrolled: 10-line block ×3, first 2 shown]
	v_lshrrev_b16 v16, 2, v117
	v_add_co_u32 v114, s0, s4, v176
	s_delay_alu instid0(VALU_DEP_1) | instskip(SKIP_1) | instid1(VALU_DEP_4)
	v_add_co_ci_u32_e64 v115, s0, s5, v177, s0
	v_sub_nc_u16 v8, v194, v238
	v_and_b32_e32 v16, 0xffff, v16
	s_waitcnt lgkmcnt(0)
	s_barrier
	buffer_gl0_inv
	s_clause 0x1
	global_load_b128 v[4:7], v[114:115], off offset:1440
	global_load_b128 v[0:3], v[114:115], off offset:1456
	v_and_b32_e32 v106, 0xff, v8
	s_clause 0x1
	global_load_b128 v[8:11], v[114:115], off offset:1472
	global_load_b128 v[12:15], v[114:115], off offset:1488
	v_mul_u32_u24_e32 v16, 0x147b, v16
	v_add_nc_u16 v24, v116, 0x168
	global_load_b128 v[20:23], v[114:115], off offset:1504
	v_mul_u32_u24_e32 v17, 5, v106
	v_add_nc_u16 v27, v116, 0x1e0
	v_lshrrev_b32_e32 v107, 17, v16
	v_lshrrev_b16 v26, 2, v24
	v_cmp_lt_u32_e64 s0, 0x63, v116
	v_lshlrev_b32_e32 v25, 4, v17
	v_lshrrev_b16 v29, 2, v27
	v_mul_lo_u16 v28, 0x64, v107
	v_and_b32_e32 v26, 0xffff, v26
	v_cndmask_b32_e64 v119, 0, 0x2580, s0
	s_clause 0x2
	global_load_b128 v[76:79], v25, s[4:5] offset:1504
	global_load_b128 v[16:19], v25, s[4:5] offset:1440
	;; [unrolled: 1-line block ×3, first 2 shown]
	v_sub_nc_u16 v28, v117, v28
	v_mul_u32_u24_e32 v26, 0x147b, v26
	s_clause 0x1
	global_load_b128 v[68:71], v25, s[4:5] offset:1472
	global_load_b128 v[72:75], v25, s[4:5] offset:1488
	v_and_b32_e32 v29, 0xffff, v29
	v_and_b32_e32 v108, 0xffff, v28
	v_lshrrev_b32_e32 v109, 17, v26
	v_lshlrev_b32_e32 v160, 4, v198
	v_and_b32_e32 v105, 0xffff, v105
	v_mul_u32_u24_e32 v29, 0x147b, v29
	v_mul_u32_u24_e32 v28, 5, v108
	v_mul_lo_u16 v26, 0x64, v109
	v_add3_u32 v220, 0, v119, v160
	v_mul_u32_u24_e32 v222, 0x2580, v107
	v_lshrrev_b32_e32 v111, 17, v29
	v_lshlrev_b32_e32 v25, 4, v28
	v_sub_nc_u16 v24, v24, v26
	v_mul_u32_u24_e32 v221, 0x2580, v105
	s_mov_b32 s2, 0xe8584caa
	s_mov_b32 s3, 0xbfebb67a
	s_clause 0x1
	global_load_b128 v[80:83], v25, s[4:5] offset:1440
	global_load_b128 v[56:59], v25, s[4:5] offset:1456
	v_and_b32_e32 v110, 0xffff, v24
	v_mul_lo_u16 v24, 0x64, v111
	s_clause 0x2
	global_load_b128 v[52:55], v25, s[4:5] offset:1472
	global_load_b128 v[40:43], v25, s[4:5] offset:1488
	;; [unrolled: 1-line block ×3, first 2 shown]
	v_mul_u32_u24_e32 v26, 5, v110
	v_sub_nc_u16 v24, v27, v24
	s_mov_b32 s7, 0x3febb67a
	s_mov_b32 s6, s2
	v_mul_u32_u24_e32 v113, 5, v116
	v_lshlrev_b32_e32 v28, 4, v26
	v_and_b32_e32 v112, 0xffff, v24
	s_clause 0x1
	global_load_b128 v[48:51], v28, s[4:5] offset:1440
	global_load_b128 v[36:39], v28, s[4:5] offset:1456
	v_mul_u32_u24_e32 v29, 5, v112
	s_clause 0x1
	global_load_b128 v[32:35], v28, s[4:5] offset:1472
	global_load_b128 v[24:27], v28, s[4:5] offset:1488
	v_lshlrev_b32_e32 v113, 4, v113
	v_lshlrev_b32_e32 v96, 4, v29
	s_clause 0x5
	global_load_b128 v[28:31], v28, s[4:5] offset:1504
	global_load_b128 v[60:63], v96, s[4:5] offset:1440
	;; [unrolled: 1-line block ×6, first 2 shown]
	ds_load_b128 v[100:103], v236 offset:9600
	ds_load_b128 v[120:123], v236 offset:19200
	;; [unrolled: 1-line block ×20, first 2 shown]
	s_waitcnt vmcnt(24) lgkmcnt(19)
	v_mul_f64 v[114:115], v[102:103], v[6:7]
	v_mul_f64 v[6:7], v[100:101], v[6:7]
	s_waitcnt vmcnt(22) lgkmcnt(17)
	v_mul_f64 v[200:201], v[126:127], v[10:11]
	v_mul_f64 v[117:118], v[122:123], v[2:3]
	;; [unrolled: 1-line block ×4, first 2 shown]
	s_waitcnt vmcnt(21) lgkmcnt(16)
	v_mul_f64 v[202:203], v[130:131], v[14:15]
	v_mul_f64 v[14:15], v[128:129], v[14:15]
	s_waitcnt vmcnt(20) lgkmcnt(15)
	v_mul_f64 v[204:205], v[134:135], v[22:23]
	v_mul_f64 v[22:23], v[132:133], v[22:23]
	v_add_co_u32 v3, s0, s4, v113
	s_delay_alu instid0(VALU_DEP_1)
	v_add_co_ci_u32_e64 v2, null, s5, 0, s0
	s_waitcnt vmcnt(19) lgkmcnt(5)
	v_mul_f64 v[216:217], v[174:175], v[78:79]
	s_waitcnt vmcnt(18)
	v_mul_f64 v[206:207], v[142:143], v[18:19]
	s_waitcnt vmcnt(17)
	v_mul_f64 v[208:209], v[146:147], v[66:67]
	v_mul_f64 v[66:67], v[144:145], v[66:67]
	;; [unrolled: 1-line block ×3, first 2 shown]
	s_waitcnt vmcnt(16)
	v_mul_f64 v[210:211], v[150:151], v[70:71]
	v_mul_f64 v[70:71], v[148:149], v[70:71]
	s_waitcnt vmcnt(15)
	v_mul_f64 v[214:215], v[154:155], v[74:75]
	v_mul_f64 v[74:75], v[152:153], v[74:75]
	;; [unrolled: 1-line block ×3, first 2 shown]
	v_fma_f64 v[114:115], v[100:101], v[4:5], v[114:115]
	v_fma_f64 v[212:213], v[102:103], v[4:5], -v[6:7]
	v_fma_f64 v[124:125], v[124:125], v[8:9], v[200:201]
	s_waitcnt vmcnt(14)
	v_mul_f64 v[200:201], v[166:167], v[82:83]
	v_mul_f64 v[82:83], v[164:165], v[82:83]
	ds_load_b128 v[4:7], v236 offset:15360
	ds_load_b128 v[100:103], v236 offset:17280
	v_fma_f64 v[117:118], v[120:121], v[0:1], v[117:118]
	v_fma_f64 v[0:1], v[122:123], v[0:1], -v[196:197]
	ds_load_b128 v[120:123], v236 offset:34560
	ds_load_b128 v[196:199], v236 offset:36480
	v_fma_f64 v[126:127], v[126:127], v[8:9], -v[10:11]
	v_fma_f64 v[128:129], v[128:129], v[12:13], v[202:203]
	v_fma_f64 v[130:131], v[130:131], v[12:13], -v[14:15]
	ds_load_b128 v[8:11], v236 offset:53760
	ds_load_b128 v[12:15], v236 offset:55680
	s_waitcnt vmcnt(13) lgkmcnt(9)
	v_mul_f64 v[202:203], v[182:183], v[58:59]
	v_fma_f64 v[132:133], v[132:133], v[20:21], v[204:205]
	v_fma_f64 v[134:135], v[134:135], v[20:21], -v[22:23]
	v_mul_f64 v[20:21], v[180:181], v[58:59]
	s_waitcnt vmcnt(12)
	v_mul_f64 v[58:59], v[170:171], v[54:55]
	v_mul_f64 v[54:55], v[168:169], v[54:55]
	s_waitcnt vmcnt(11) lgkmcnt(7)
	v_mul_f64 v[204:205], v[190:191], v[42:43]
	v_fma_f64 v[140:141], v[140:141], v[16:17], v[206:207]
	v_mul_f64 v[42:43], v[188:189], v[42:43]
	s_waitcnt vmcnt(10)
	v_mul_f64 v[206:207], v[178:179], v[46:47]
	v_mul_f64 v[46:47], v[176:177], v[46:47]
	v_fma_f64 v[144:145], v[144:145], v[64:65], v[208:209]
	v_fma_f64 v[64:65], v[146:147], v[64:65], -v[66:67]
	s_waitcnt vmcnt(8)
	v_mul_f64 v[146:147], v[186:187], v[38:39]
	v_mul_f64 v[38:39], v[184:185], v[38:39]
	s_waitcnt vmcnt(7) lgkmcnt(3)
	v_mul_f64 v[208:209], v[122:123], v[34:35]
	v_fma_f64 v[148:149], v[148:149], v[68:69], v[210:211]
	v_fma_f64 v[68:69], v[150:151], v[68:69], -v[70:71]
	v_mul_f64 v[34:35], v[120:121], v[34:35]
	s_waitcnt vmcnt(5) lgkmcnt(1)
	v_mul_f64 v[150:151], v[10:11], v[30:31]
	v_mul_f64 v[30:31], v[8:9], v[30:31]
	;; [unrolled: 1-line block ×3, first 2 shown]
	v_fma_f64 v[152:153], v[152:153], v[72:73], v[214:215]
	v_fma_f64 v[72:73], v[154:155], v[72:73], -v[74:75]
	s_waitcnt vmcnt(3)
	v_mul_f64 v[154:155], v[158:159], v[86:87]
	v_fma_f64 v[172:173], v[172:173], v[76:77], v[216:217]
	v_fma_f64 v[76:77], v[174:175], v[76:77], -v[78:79]
	v_mul_f64 v[78:79], v[156:157], v[86:87]
	s_waitcnt vmcnt(2)
	v_mul_f64 v[86:87], v[198:199], v[90:91]
	v_fma_f64 v[164:165], v[164:165], v[80:81], v[200:201]
	v_fma_f64 v[80:81], v[166:167], v[80:81], -v[82:83]
	v_mul_f64 v[82:83], v[196:197], v[90:91]
	s_waitcnt vmcnt(0) lgkmcnt(0)
	v_mul_f64 v[90:91], v[14:15], v[98:99]
	v_mul_f64 v[98:99], v[12:13], v[98:99]
	;; [unrolled: 1-line block ×8, first 2 shown]
	v_mul_u32_u24_e32 v210, 0x2580, v109
	v_mul_u32_u24_e32 v211, 0x2580, v111
	v_lshlrev_b32_e32 v216, 4, v110
	v_lshlrev_b32_e32 v217, 4, v112
	v_fma_f64 v[109:110], v[170:171], v[52:53], -v[54:55]
	v_fma_f64 v[111:112], v[188:189], v[40:41], v[204:205]
	v_fma_f64 v[40:41], v[190:191], v[40:41], -v[42:43]
	v_fma_f64 v[42:43], v[176:177], v[44:45], v[206:207]
	v_fma_f64 v[44:45], v[178:179], v[44:45], -v[46:47]
	v_mul_f64 v[218:219], v[6:7], v[50:51]
	v_fma_f64 v[142:143], v[142:143], v[16:17], -v[18:19]
	v_fma_f64 v[46:47], v[184:185], v[36:37], v[146:147]
	v_fma_f64 v[36:37], v[186:187], v[36:37], -v[38:39]
	v_fma_f64 v[38:39], v[120:121], v[32:33], v[208:209]
	v_lshlrev_b32_e32 v215, 4, v108
	v_fma_f64 v[107:108], v[182:183], v[56:57], -v[20:21]
	v_fma_f64 v[32:33], v[122:123], v[32:33], -v[34:35]
	ds_load_b128 v[16:19], v236
	ds_load_b128 v[20:23], v236 offset:1920
	v_fma_f64 v[10:11], v[10:11], v[28:29], -v[30:31]
	v_fma_f64 v[34:35], v[192:193], v[24:25], v[70:71]
	v_fma_f64 v[8:9], v[8:9], v[28:29], v[150:151]
	v_lshlrev_b32_e32 v214, 4, v106
	v_fma_f64 v[105:106], v[180:181], v[56:57], v[202:203]
	v_fma_f64 v[58:59], v[168:169], v[52:53], v[58:59]
	v_fma_f64 v[30:31], v[156:157], v[84:85], v[154:155]
	ds_load_b128 v[50:53], v236 offset:3840
	ds_load_b128 v[54:57], v236 offset:5760
	v_add_f64 v[121:122], v[140:141], v[148:149]
	s_waitcnt lgkmcnt(0)
	s_barrier
	v_fma_f64 v[70:71], v[198:199], v[88:89], -v[82:83]
	v_fma_f64 v[12:13], v[12:13], v[96:97], v[90:91]
	v_fma_f64 v[14:15], v[14:15], v[96:97], -v[98:99]
	v_add_f64 v[90:91], v[124:125], v[132:133]
	v_fma_f64 v[28:29], v[102:103], v[60:61], -v[62:63]
	v_add_f64 v[98:99], v[126:127], -v[134:135]
	v_fma_f64 v[62:63], v[162:163], v[92:93], -v[94:95]
	v_add_f64 v[94:95], v[126:127], v[134:135]
	v_fma_f64 v[6:7], v[6:7], v[48:49], -v[66:67]
	v_fma_f64 v[24:25], v[194:195], v[24:25], -v[26:27]
	v_fma_f64 v[26:27], v[100:101], v[60:61], v[74:75]
	v_fma_f64 v[60:61], v[160:161], v[92:93], v[174:175]
	v_fma_f64 v[66:67], v[196:197], v[88:89], v[86:87]
	v_add_f64 v[86:87], v[114:115], v[124:125]
	v_add_f64 v[88:89], v[212:213], v[126:127]
	v_add_f64 v[92:93], v[124:125], -v[132:133]
	v_add_f64 v[125:126], v[68:69], v[76:77]
	v_add_f64 v[166:167], v[109:110], v[44:45]
	v_fma_f64 v[4:5], v[4:5], v[48:49], v[218:219]
	v_add_f64 v[74:75], v[117:118], v[128:129]
	v_add_f64 v[82:83], v[16:17], v[117:118]
	;; [unrolled: 1-line block ×3, first 2 shown]
	v_fma_f64 v[48:49], v[158:159], v[84:85], -v[78:79]
	v_add_f64 v[78:79], v[0:1], v[130:131]
	v_add_f64 v[84:85], v[18:19], v[0:1]
	;; [unrolled: 1-line block ×6, first 2 shown]
	v_add_f64 v[96:97], v[117:118], -v[128:129]
	v_add_f64 v[117:118], v[20:21], v[144:145]
	v_add_f64 v[154:155], v[50:51], v[105:106]
	;; [unrolled: 1-line block ×5, first 2 shown]
	v_add_f64 v[148:149], v[148:149], -v[172:173]
	v_add_f64 v[156:157], v[52:53], v[107:108]
	v_add_f64 v[160:161], v[80:81], v[109:110]
	;; [unrolled: 1-line block ×5, first 2 shown]
	v_add_f64 v[58:59], v[58:59], -v[42:43]
	v_add_f64 v[170:171], v[54:55], v[46:47]
	v_add_f64 v[200:201], v[38:39], v[8:9]
	;; [unrolled: 1-line block ×3, first 2 shown]
	v_fma_f64 v[94:95], v[94:95], -0.5, v[212:213]
	v_add_f64 v[178:179], v[6:7], v[32:33]
	v_add_f64 v[168:169], v[36:37], v[24:25]
	v_add_f64 v[202:203], v[36:37], -v[24:25]
	v_add_f64 v[36:37], v[32:33], -v[10:11]
	v_add_f64 v[180:181], v[30:31], v[60:61]
	v_add_f64 v[190:191], v[26:27], v[66:67]
	v_add_f64 v[64:65], v[64:65], -v[72:73]
	v_add_f64 v[68:69], v[68:69], -v[76:77]
	v_fma_f64 v[32:33], v[125:126], -0.5, v[142:143]
	v_add_f64 v[142:143], v[30:31], -v[60:61]
	v_fma_f64 v[30:31], v[166:167], -0.5, v[80:81]
	v_add_f64 v[176:177], v[4:5], v[38:39]
	v_add_f64 v[38:39], v[38:39], -v[8:9]
	v_fma_f64 v[16:17], v[74:75], -0.5, v[16:17]
	v_add_f64 v[74:75], v[82:83], v[128:129]
	v_add_f64 v[80:81], v[86:87], v[132:133]
	v_fma_f64 v[86:87], v[100:101], -0.5, v[20:21]
	v_add_f64 v[125:126], v[66:67], v[12:13]
	v_add_f64 v[66:67], v[66:67], -v[12:13]
	v_fma_f64 v[20:21], v[184:185], -0.5, v[6:7]
	v_fma_f64 v[18:19], v[78:79], -0.5, v[18:19]
	v_add_f64 v[78:79], v[84:85], v[130:131]
	v_add_f64 v[82:83], v[88:89], v[134:135]
	v_fma_f64 v[84:85], v[90:91], -0.5, v[114:115]
	v_fma_f64 v[88:89], v[102:103], -0.5, v[22:23]
	v_add_f64 v[72:73], v[119:120], v[72:73]
	v_add_f64 v[76:77], v[123:124], v[76:77]
	v_add_f64 v[0:1], v[0:1], -v[130:131]
	v_add_f64 v[146:147], v[105:106], v[111:112]
	v_add_f64 v[188:189], v[138:139], v[48:49]
	v_add_f64 v[105:106], v[105:106], -v[111:112]
	v_add_f64 v[22:23], v[117:118], v[152:153]
	v_fma_f64 v[28:29], v[196:197], -0.5, v[28:29]
	v_add_f64 v[90:91], v[121:122], v[172:173]
	v_add_f64 v[100:101], v[154:155], v[111:112]
	;; [unrolled: 1-line block ×4, first 2 shown]
	v_fma_f64 v[102:103], v[92:93], s[6:7], v[94:95]
	v_fma_f64 v[24:25], v[92:93], s[2:3], v[94:95]
	v_fma_f64 v[117:118], v[194:195], -0.5, v[140:141]
	v_add_f64 v[150:151], v[107:108], v[40:41]
	v_add_f64 v[107:108], v[107:108], -v[40:41]
	v_add_f64 v[109:110], v[109:110], -v[44:45]
	v_add_f64 v[40:41], v[156:157], v[40:41]
	v_add_f64 v[44:45], v[160:161], v[44:45]
	;; [unrolled: 1-line block ×3, first 2 shown]
	v_fma_f64 v[119:120], v[148:149], s[6:7], v[32:33]
	v_fma_f64 v[32:33], v[148:149], s[2:3], v[32:33]
	v_fma_f64 v[129:130], v[198:199], -0.5, v[164:165]
	v_fma_f64 v[131:132], v[58:59], s[6:7], v[30:31]
	v_fma_f64 v[58:59], v[58:59], s[2:3], v[30:31]
	v_add_f64 v[162:163], v[46:47], v[34:35]
	v_add_f64 v[46:47], v[46:47], -v[34:35]
	v_add_f64 v[34:35], v[170:171], v[34:35]
	v_add_f64 v[114:115], v[176:177], v[8:9]
	v_fma_f64 v[133:134], v[200:201], -0.5, v[4:5]
	v_add_f64 v[4:5], v[74:75], v[80:81]
	v_add_f64 v[8:9], v[74:75], -v[80:81]
	v_fma_f64 v[74:75], v[38:39], s[6:7], v[20:21]
	v_add_f64 v[92:93], v[178:179], v[10:11]
	v_fma_f64 v[38:39], v[38:39], s[2:3], v[20:21]
	v_add_f64 v[70:71], v[70:71], -v[14:15]
	v_fma_f64 v[125:126], v[125:126], -0.5, v[26:27]
	v_add_f64 v[6:7], v[78:79], v[82:83]
	v_add_f64 v[10:11], v[78:79], -v[82:83]
	v_fma_f64 v[78:79], v[98:99], s[2:3], v[84:85]
	v_fma_f64 v[84:85], v[98:99], s[6:7], v[84:85]
	v_add_f64 v[127:128], v[192:193], v[14:15]
	v_fma_f64 v[82:83], v[96:97], s[6:7], v[18:19]
	v_fma_f64 v[96:97], v[96:97], s[2:3], v[18:19]
	;; [unrolled: 1-line block ×4, first 2 shown]
	v_add_f64 v[14:15], v[72:73], v[76:77]
	v_add_f64 v[18:19], v[72:73], -v[76:77]
	v_add_f64 v[48:49], v[48:49], -v[62:63]
	v_mul_f64 v[72:73], v[102:103], s[2:3]
	v_mul_f64 v[76:77], v[102:103], 0.5
	v_add_f64 v[60:61], v[186:187], v[60:61]
	v_add_f64 v[62:63], v[188:189], v[62:63]
	;; [unrolled: 1-line block ×3, first 2 shown]
	v_fma_f64 v[80:81], v[0:1], s[2:3], v[16:17]
	v_fma_f64 v[0:1], v[0:1], s[6:7], v[16:17]
	v_add_f64 v[12:13], v[22:23], v[90:91]
	v_add_f64 v[16:17], v[22:23], -v[90:91]
	v_mul_f64 v[90:91], v[24:25], s[2:3]
	v_mul_f64 v[102:103], v[24:25], -0.5
	v_add_f64 v[144:145], v[144:145], -v[152:153]
	v_fma_f64 v[94:95], v[180:181], -0.5, v[136:137]
	v_add_f64 v[20:21], v[100:101], v[42:43]
	v_add_f64 v[24:25], v[100:101], -v[42:43]
	v_fma_f64 v[100:101], v[68:69], s[2:3], v[117:118]
	v_mul_f64 v[135:136], v[119:120], s[2:3]
	v_mul_f64 v[119:120], v[119:120], 0.5
	v_add_f64 v[22:23], v[40:41], v[44:45]
	v_add_f64 v[26:27], v[40:41], -v[44:45]
	v_fma_f64 v[44:45], v[68:69], s[6:7], v[117:118]
	v_mul_f64 v[68:69], v[32:33], s[2:3]
	v_mul_f64 v[117:118], v[32:33], -0.5
	v_fma_f64 v[50:51], v[146:147], -0.5, v[50:51]
	v_fma_f64 v[52:53], v[150:151], -0.5, v[52:53]
	;; [unrolled: 1-line block ×3, first 2 shown]
	v_fma_f64 v[137:138], v[109:110], s[2:3], v[129:130]
	v_mul_f64 v[139:140], v[131:132], s[2:3]
	v_mul_f64 v[131:132], v[131:132], 0.5
	v_fma_f64 v[109:110], v[109:110], s[6:7], v[129:130]
	v_mul_f64 v[129:130], v[58:59], s[2:3]
	v_mul_f64 v[58:59], v[58:59], -0.5
	v_fma_f64 v[54:55], v[162:163], -0.5, v[54:55]
	v_fma_f64 v[56:57], v[168:169], -0.5, v[56:57]
	v_add_f64 v[28:29], v[34:35], v[114:115]
	v_add_f64 v[32:33], v[34:35], -v[114:115]
	v_fma_f64 v[114:115], v[36:37], s[2:3], v[133:134]
	v_mul_f64 v[146:147], v[74:75], s[2:3]
	v_mul_f64 v[74:75], v[74:75], 0.5
	v_add_f64 v[30:31], v[111:112], v[92:93]
	v_add_f64 v[34:35], v[111:112], -v[92:93]
	v_fma_f64 v[92:93], v[36:37], s[6:7], v[133:134]
	v_mul_f64 v[111:112], v[38:39], s[2:3]
	v_mul_f64 v[133:134], v[38:39], -0.5
	v_fma_f64 v[148:149], v[70:71], s[2:3], v[125:126]
	v_mul_f64 v[150:151], v[98:99], s[2:3]
	v_mul_f64 v[98:99], v[98:99], 0.5
	v_fma_f64 v[70:71], v[70:71], s[6:7], v[125:126]
	v_mul_f64 v[125:126], v[66:67], s[2:3]
	v_mul_f64 v[66:67], v[66:67], -0.5
	v_fma_f64 v[72:73], v[78:79], 0.5, v[72:73]
	v_fma_f64 v[76:77], v[78:79], s[6:7], v[76:77]
	v_add_f64 v[36:37], v[60:61], v[123:124]
	v_add_f64 v[38:39], v[62:63], v[127:128]
	v_add_f64 v[40:41], v[60:61], -v[123:124]
	v_add_f64 v[42:43], v[62:63], -v[127:128]
	v_fma_f64 v[60:61], v[84:85], -0.5, v[90:91]
	v_fma_f64 v[62:63], v[84:85], s[6:7], v[102:103]
	v_fma_f64 v[78:79], v[64:65], s[2:3], v[86:87]
	v_fma_f64 v[84:85], v[144:145], s[6:7], v[88:89]
	v_fma_f64 v[90:91], v[100:101], 0.5, v[135:136]
	v_fma_f64 v[100:101], v[100:101], s[6:7], v[119:120]
	v_fma_f64 v[86:87], v[64:65], s[6:7], v[86:87]
	v_fma_f64 v[88:89], v[144:145], s[2:3], v[88:89]
	v_fma_f64 v[102:103], v[44:45], -0.5, v[68:69]
	v_fma_f64 v[117:118], v[44:45], s[6:7], v[117:118]
	v_fma_f64 v[119:120], v[107:108], s[2:3], v[50:51]
	v_fma_f64 v[123:124], v[105:106], s[6:7], v[52:53]
	v_fma_f64 v[127:128], v[137:138], 0.5, v[139:140]
	v_fma_f64 v[131:132], v[137:138], s[6:7], v[131:132]
	v_fma_f64 v[107:108], v[107:108], s[6:7], v[50:51]
	v_fma_f64 v[105:106], v[105:106], s[2:3], v[52:53]
	;; [unrolled: 8-line block ×4, first 2 shown]
	v_fma_f64 v[158:159], v[70:71], -0.5, v[125:126]
	v_fma_f64 v[160:161], v[70:71], s[6:7], v[66:67]
	v_add_f64 v[44:45], v[80:81], v[72:73]
	v_add_f64 v[46:47], v[82:83], v[76:77]
	v_add_f64 v[48:49], v[80:81], -v[72:73]
	v_add_f64 v[50:51], v[82:83], -v[76:77]
	v_add_f64 v[52:53], v[0:1], v[60:61]
	v_add_f64 v[54:55], v[96:97], v[62:63]
	v_add_f64 v[56:57], v[0:1], -v[60:61]
	v_add_f64 v[58:59], v[96:97], -v[62:63]
	;; [unrolled: 4-line block ×10, first 2 shown]
	v_add_co_u32 v0, s0, 0x2000, v3
	s_delay_alu instid0(VALU_DEP_1)
	v_add_co_ci_u32_e64 v1, s0, 0, v2, s0
	v_add3_u32 v114, 0, v221, v214
	v_add3_u32 v115, 0, v222, v215
	;; [unrolled: 1-line block ×4, first 2 shown]
	buffer_gl0_inv
	ds_store_b128 v220, v[4:7]
	ds_store_b128 v220, v[44:47] offset:1600
	ds_store_b128 v220, v[8:11] offset:4800
	ds_store_b128 v220, v[52:55] offset:3200
	ds_store_b128 v220, v[48:51] offset:6400
	ds_store_b128 v220, v[56:59] offset:8000
	ds_store_b128 v114, v[12:15]
	ds_store_b128 v114, v[60:63] offset:1600
	ds_store_b128 v114, v[68:71] offset:3200
	ds_store_b128 v114, v[16:19] offset:4800
	ds_store_b128 v114, v[64:67] offset:6400
	ds_store_b128 v114, v[72:75] offset:8000
	;; [unrolled: 6-line block ×5, first 2 shown]
	v_add_co_u32 v8, s0, 0x24e0, v3
	s_delay_alu instid0(VALU_DEP_1)
	v_add_co_ci_u32_e64 v9, s0, 0, v2, s0
	s_waitcnt lgkmcnt(0)
	s_barrier
	buffer_gl0_inv
	s_clause 0x4
	global_load_b128 v[4:7], v[0:1], off offset:1248
	global_load_b128 v[16:19], v[8:9], off offset:16
	;; [unrolled: 1-line block ×5, first 2 shown]
	v_add_co_u32 v0, s0, 0x4000, v3
	s_delay_alu instid0(VALU_DEP_1) | instskip(SKIP_1) | instid1(VALU_DEP_1)
	v_add_co_ci_u32_e64 v1, s0, 0, v2, s0
	v_add_co_u32 v20, s0, 0x4a60, v3
	v_add_co_ci_u32_e64 v21, s0, 0, v2, s0
	global_load_b128 v[28:31], v[0:1], off offset:2656
	v_add_co_u32 v26, s0, 0x6000, v3
	s_clause 0x2
	global_load_b128 v[32:35], v[20:21], off offset:16
	global_load_b128 v[36:39], v[20:21], off offset:32
	;; [unrolled: 1-line block ×3, first 2 shown]
	v_add_co_ci_u32_e64 v27, s0, 0, v2, s0
	v_add_co_u32 v44, s0, 0x6fe0, v3
	s_delay_alu instid0(VALU_DEP_1) | instskip(SKIP_1) | instid1(VALU_DEP_1)
	v_add_co_ci_u32_e64 v45, s0, 0, v2, s0
	v_add_co_u32 v20, s0, 0x7000, v3
	v_add_co_ci_u32_e64 v21, s0, 0, v2, s0
	s_clause 0x1
	global_load_b128 v[52:55], v[0:1], off offset:2720
	global_load_b128 v[60:63], v[26:27], off offset:4064
	v_add_co_u32 v0, s0, 0x9000, v3
	v_add_nc_u32_e32 v46, 0x9600, v113
	v_add_co_ci_u32_e64 v1, s0, 0, v2, s0
	v_add_co_u32 v26, s0, 0x9560, v3
	s_delay_alu instid0(VALU_DEP_1)
	v_add_co_ci_u32_e64 v27, s0, 0, v2, s0
	s_clause 0x3
	global_load_b128 v[64:67], v[44:45], off offset:16
	global_load_b128 v[68:71], v[44:45], off offset:32
	;; [unrolled: 1-line block ×4, first 2 shown]
	v_add_co_u32 v20, s0, s4, v46
	s_delay_alu instid0(VALU_DEP_1) | instskip(SKIP_4) | instid1(VALU_DEP_1)
	v_add_co_ci_u32_e64 v21, null, s5, 0, s0
	s_clause 0x1
	global_load_b128 v[80:83], v[0:1], off offset:1376
	global_load_b128 v[84:87], v[26:27], off offset:16
	v_add_co_u32 v2, s0, 0x2000, v20
	v_add_co_ci_u32_e64 v3, s0, 0, v21, s0
	v_add_co_u32 v20, s0, 0x24e0, v20
	s_clause 0x1
	global_load_b128 v[88:91], v[26:27], off offset:32
	global_load_b128 v[92:95], v[26:27], off offset:48
	v_add_co_ci_u32_e64 v21, s0, 0, v21, s0
	s_clause 0x5
	global_load_b128 v[96:99], v[0:1], off offset:1440
	global_load_b128 v[100:103], v[2:3], off offset:1248
	;; [unrolled: 1-line block ×6, first 2 shown]
	ds_load_b128 v[44:47], v236 offset:9600
	ds_load_b128 v[48:51], v236 offset:19200
	;; [unrolled: 1-line block ×26, first 2 shown]
	s_waitcnt vmcnt(23) lgkmcnt(24)
	v_mul_f64 v[113:114], v[48:49], v[18:19]
	v_mul_f64 v[20:21], v[46:47], v[6:7]
	;; [unrolled: 1-line block ×4, first 2 shown]
	s_waitcnt vmcnt(22) lgkmcnt(23)
	v_mul_f64 v[117:118], v[58:59], v[14:15]
	v_mul_f64 v[216:217], v[56:57], v[14:15]
	s_waitcnt vmcnt(21) lgkmcnt(22)
	v_mul_f64 v[218:219], v[130:131], v[10:11]
	v_mul_f64 v[10:11], v[128:129], v[10:11]
	;; [unrolled: 3-line block ×4, first 2 shown]
	s_waitcnt vmcnt(18)
	v_mul_f64 v[226:227], v[138:139], v[34:35]
	v_mul_f64 v[34:35], v[136:137], v[34:35]
	s_waitcnt vmcnt(16) lgkmcnt(16)
	v_mul_f64 v[228:229], v[150:151], v[42:43]
	s_waitcnt vmcnt(15) lgkmcnt(11)
	v_mul_f64 v[230:231], v[170:171], v[54:55]
	v_mul_f64 v[54:55], v[168:169], v[54:55]
	s_waitcnt vmcnt(14)
	v_mul_f64 v[232:233], v[158:159], v[62:63]
	v_mul_f64 v[62:63], v[156:157], v[62:63]
	v_fma_f64 v[14:15], v[44:45], v[4:5], v[20:21]
	v_fma_f64 v[18:19], v[46:47], v[4:5], -v[6:7]
	v_mul_f64 v[4:5], v[162:163], v[38:39]
	v_fma_f64 v[46:47], v[50:51], v[16:17], -v[113:114]
	v_mul_f64 v[113:114], v[148:149], v[42:43]
	v_mul_f64 v[6:7], v[160:161], v[38:39]
	v_fma_f64 v[44:45], v[48:49], v[16:17], v[26:27]
	v_fma_f64 v[50:51], v[56:57], v[12:13], v[117:118]
	v_fma_f64 v[48:49], v[58:59], v[12:13], -v[216:217]
	s_waitcnt vmcnt(13) lgkmcnt(9)
	v_mul_f64 v[117:118], v[178:179], v[66:67]
	s_waitcnt vmcnt(12)
	v_mul_f64 v[216:217], v[166:167], v[70:71]
	v_fma_f64 v[20:21], v[130:131], v[8:9], -v[10:11]
	v_mul_f64 v[70:71], v[164:165], v[70:71]
	s_waitcnt vmcnt(10)
	v_mul_f64 v[130:131], v[174:175], v[78:79]
	v_mul_f64 v[78:79], v[172:173], v[78:79]
	v_fma_f64 v[16:17], v[128:129], v[8:9], v[218:219]
	s_waitcnt lgkmcnt(7)
	v_mul_f64 v[128:129], v[186:187], v[74:75]
	v_mul_f64 v[74:75], v[184:185], v[74:75]
	v_fma_f64 v[24:25], v[132:133], v[22:23], v[220:221]
	s_waitcnt vmcnt(9) lgkmcnt(5)
	v_mul_f64 v[132:133], v[194:195], v[82:83]
	v_mul_f64 v[82:83], v[192:193], v[82:83]
	v_fma_f64 v[12:13], v[140:141], v[28:29], v[224:225]
	s_waitcnt vmcnt(7) lgkmcnt(3)
	;; [unrolled: 4-line block ×3, first 2 shown]
	v_mul_f64 v[136:137], v[210:211], v[98:99]
	v_mul_f64 v[98:99], v[208:209], v[98:99]
	v_fma_f64 v[26:27], v[134:135], v[22:23], -v[222:223]
	v_mul_f64 v[134:135], v[182:183], v[86:87]
	v_fma_f64 v[28:29], v[142:143], v[28:29], -v[30:31]
	v_mul_f64 v[86:87], v[180:181], v[86:87]
	v_mul_f64 v[142:143], v[190:191], v[94:95]
	v_fma_f64 v[56:57], v[138:139], v[32:33], -v[34:35]
	v_mul_f64 v[94:95], v[188:189], v[94:95]
	s_waitcnt vmcnt(4)
	v_mul_f64 v[138:139], v[198:199], v[102:103]
	s_waitcnt vmcnt(3)
	v_mul_f64 v[218:219], v[146:147], v[107:108]
	v_mul_f64 v[107:108], v[144:145], v[107:108]
	;; [unrolled: 1-line block ×3, first 2 shown]
	v_fma_f64 v[30:31], v[148:149], v[40:41], v[228:229]
	s_waitcnt vmcnt(0) lgkmcnt(0)
	v_mul_f64 v[148:149], v[214:215], v[126:127]
	v_fma_f64 v[58:59], v[160:161], v[36:37], v[4:5]
	v_mul_f64 v[160:161], v[154:155], v[111:112]
	v_mul_f64 v[111:112], v[152:153], v[111:112]
	v_fma_f64 v[32:33], v[150:151], v[40:41], -v[113:114]
	v_mul_f64 v[113:114], v[206:207], v[122:123]
	v_mul_f64 v[122:123], v[204:205], v[122:123]
	;; [unrolled: 1-line block ×4, first 2 shown]
	v_fma_f64 v[42:43], v[162:163], v[36:37], -v[6:7]
	v_fma_f64 v[36:37], v[170:171], v[52:53], -v[54:55]
	v_fma_f64 v[34:35], v[168:169], v[52:53], v[230:231]
	v_fma_f64 v[52:53], v[176:177], v[64:65], v[117:118]
	;; [unrolled: 1-line block ×3, first 2 shown]
	v_fma_f64 v[68:69], v[166:167], v[68:69], -v[70:71]
	v_fma_f64 v[70:71], v[174:175], v[76:77], -v[78:79]
	v_fma_f64 v[128:129], v[184:185], v[72:73], v[128:129]
	v_fma_f64 v[72:73], v[186:187], v[72:73], -v[74:75]
	v_fma_f64 v[74:75], v[192:193], v[80:81], v[132:133]
	;; [unrolled: 2-line block ×3, first 2 shown]
	v_fma_f64 v[82:83], v[200:201], v[88:89], v[140:141]
	v_fma_f64 v[88:89], v[202:203], v[88:89], -v[90:91]
	ds_load_b128 v[8:11], v236
	ds_load_b128 v[4:7], v236 offset:1920
	v_fma_f64 v[40:41], v[158:159], v[60:61], -v[62:63]
	v_fma_f64 v[98:99], v[210:211], v[96:97], -v[98:99]
	v_fma_f64 v[76:77], v[172:173], v[76:77], v[130:131]
	v_fma_f64 v[78:79], v[180:181], v[84:85], v[134:135]
	;; [unrolled: 1-line block ×3, first 2 shown]
	v_fma_f64 v[84:85], v[182:183], v[84:85], -v[86:87]
	v_fma_f64 v[86:87], v[188:189], v[92:93], v[142:143]
	v_add_f64 v[132:133], v[14:15], v[50:51]
	v_fma_f64 v[92:93], v[190:191], v[92:93], -v[94:95]
	v_add_f64 v[134:135], v[18:19], v[48:49]
	v_fma_f64 v[90:91], v[144:145], v[105:106], v[218:219]
	v_fma_f64 v[94:95], v[146:147], v[105:106], -v[107:108]
	v_add_f64 v[144:145], v[48:49], v[26:27]
	v_add_f64 v[190:191], v[50:51], v[24:25]
	v_add_f64 v[50:51], v[50:51], -v[24:25]
	v_add_f64 v[136:137], v[38:39], v[30:31]
	v_fma_f64 v[105:106], v[152:153], v[109:110], v[160:161]
	v_fma_f64 v[107:108], v[154:155], v[109:110], -v[111:112]
	v_fma_f64 v[109:110], v[196:197], v[100:101], v[138:139]
	v_fma_f64 v[100:101], v[198:199], v[100:101], -v[102:103]
	;; [unrolled: 2-line block ×3, first 2 shown]
	v_fma_f64 v[119:120], v[214:215], v[124:125], -v[126:127]
	v_fma_f64 v[54:55], v[178:179], v[64:65], -v[66:67]
	ds_load_b128 v[60:63], v236 offset:3840
	ds_load_b128 v[64:67], v236 offset:5760
	v_add_f64 v[160:161], v[42:43], v[36:37]
	v_add_f64 v[121:122], v[44:45], v[16:17]
	v_fma_f64 v[113:114], v[212:213], v[124:125], v[148:149]
	v_add_f64 v[123:124], v[46:47], v[20:21]
	v_add_f64 v[176:177], v[68:69], v[70:71]
	s_waitcnt lgkmcnt(3)
	v_add_f64 v[125:126], v[8:9], v[44:45]
	v_add_f64 v[130:131], v[10:11], v[46:47]
	s_waitcnt lgkmcnt(2)
	v_add_f64 v[140:141], v[4:5], v[38:39]
	v_add_f64 v[142:143], v[6:7], v[56:57]
	;; [unrolled: 1-line block ×10, first 2 shown]
	v_add_f64 v[58:59], v[58:59], -v[34:35]
	s_waitcnt lgkmcnt(1)
	v_add_f64 v[154:155], v[60:61], v[52:53]
	s_waitcnt lgkmcnt(0)
	v_add_f64 v[168:169], v[64:65], v[78:79]
	v_add_f64 v[170:171], v[66:67], v[84:85]
	;; [unrolled: 1-line block ×4, first 2 shown]
	v_add_f64 v[117:118], v[117:118], -v[76:77]
	v_add_f64 v[46:47], v[46:47], -v[20:21]
	v_fma_f64 v[18:19], v[144:145], -0.5, v[18:19]
	v_add_f64 v[44:45], v[44:45], -v[16:17]
	v_add_f64 v[48:49], v[48:49], -v[26:27]
	;; [unrolled: 1-line block ×4, first 2 shown]
	v_add_f64 v[144:145], v[82:83], v[96:97]
	v_add_f64 v[82:83], v[82:83], -v[96:97]
	v_add_f64 v[178:179], v[90:91], v[105:106]
	v_add_f64 v[186:187], v[109:110], v[102:103]
	;; [unrolled: 1-line block ×5, first 2 shown]
	v_add_f64 v[42:43], v[42:43], -v[36:37]
	v_fma_f64 v[28:29], v[160:161], -0.5, v[28:29]
	v_fma_f64 v[121:122], v[121:122], -0.5, v[8:9]
	v_add_f64 v[160:161], v[102:103], v[113:114]
	v_fma_f64 v[123:124], v[123:124], -0.5, v[10:11]
	v_fma_f64 v[8:9], v[176:177], -0.5, v[40:41]
	v_add_f64 v[10:11], v[125:126], v[16:17]
	v_add_f64 v[16:17], v[130:131], v[20:21]
	;; [unrolled: 1-line block ×6, first 2 shown]
	v_add_f64 v[102:103], v[102:103], -v[113:114]
	v_add_f64 v[36:37], v[148:149], v[36:37]
	v_add_f64 v[180:181], v[94:95], v[107:108]
	v_fma_f64 v[32:33], v[192:193], -0.5, v[80:81]
	v_add_f64 v[76:77], v[158:159], v[76:77]
	v_add_f64 v[150:151], v[52:53], v[128:129]
	;; [unrolled: 1-line block ×4, first 2 shown]
	v_add_f64 v[54:55], v[54:55], -v[72:73]
	v_add_f64 v[52:53], v[52:53], -v[128:129]
	;; [unrolled: 1-line block ×3, first 2 shown]
	v_add_f64 v[70:71], v[162:163], v[70:71]
	v_fma_f64 v[127:128], v[190:191], -0.5, v[14:15]
	v_add_f64 v[164:165], v[78:79], v[86:87]
	v_fma_f64 v[129:130], v[50:51], s[6:7], v[18:19]
	v_fma_f64 v[50:51], v[50:51], s[2:3], v[18:19]
	v_add_f64 v[166:167], v[84:85], v[92:93]
	v_add_f64 v[84:85], v[84:85], -v[92:93]
	v_add_f64 v[78:79], v[78:79], -v[86:87]
	;; [unrolled: 1-line block ×3, first 2 shown]
	v_fma_f64 v[40:41], v[136:137], -0.5, v[4:5]
	v_add_f64 v[34:35], v[146:147], v[34:35]
	v_add_f64 v[86:87], v[168:169], v[86:87]
	;; [unrolled: 1-line block ×3, first 2 shown]
	v_fma_f64 v[100:101], v[196:197], -0.5, v[100:101]
	v_add_f64 v[72:73], v[156:157], v[72:73]
	v_add_f64 v[92:93], v[170:171], v[92:93]
	;; [unrolled: 1-line block ×3, first 2 shown]
	v_fma_f64 v[133:134], v[194:195], -0.5, v[12:13]
	v_fma_f64 v[135:136], v[58:59], s[6:7], v[28:29]
	v_fma_f64 v[58:59], v[58:59], s[2:3], v[28:29]
	v_fma_f64 v[80:81], v[138:139], -0.5, v[6:7]
	v_fma_f64 v[139:140], v[198:199], -0.5, v[22:23]
	v_fma_f64 v[141:142], v[117:118], s[6:7], v[8:9]
	v_fma_f64 v[117:118], v[117:118], s[2:3], v[8:9]
	v_fma_f64 v[74:75], v[144:145], -0.5, v[74:75]
	v_add_f64 v[182:183], v[0:1], v[90:91]
	v_add_f64 v[111:112], v[111:112], -v[119:120]
	v_fma_f64 v[131:132], v[178:179], -0.5, v[0:1]
	v_fma_f64 v[109:110], v[160:161], -0.5, v[109:110]
	v_add_f64 v[0:1], v[10:11], v[20:21]
	v_fma_f64 v[143:144], v[82:83], s[6:7], v[32:33]
	v_fma_f64 v[82:83], v[82:83], s[2:3], v[32:33]
	v_add_f64 v[4:5], v[10:11], -v[20:21]
	v_add_f64 v[10:11], v[30:31], v[36:37]
	v_add_f64 v[14:15], v[30:31], -v[36:37]
	v_add_f64 v[184:185], v[2:3], v[94:95]
	v_fma_f64 v[137:138], v[180:181], -0.5, v[2:3]
	v_add_f64 v[2:3], v[16:17], v[24:25]
	v_add_f64 v[6:7], v[16:17], -v[24:25]
	v_add_f64 v[16:17], v[125:126], v[76:77]
	v_add_f64 v[20:21], v[125:126], -v[76:77]
	v_fma_f64 v[60:61], v[150:151], -0.5, v[60:61]
	v_fma_f64 v[62:63], v[152:153], -0.5, v[62:63]
	;; [unrolled: 1-line block ×4, first 2 shown]
	v_add_f64 v[94:95], v[94:95], -v[107:108]
	v_add_f64 v[90:91], v[90:91], -v[105:106]
	v_add_f64 v[113:114], v[186:187], v[113:114]
	v_add_f64 v[8:9], v[26:27], v[34:35]
	v_add_f64 v[12:13], v[26:27], -v[34:35]
	v_add_f64 v[24:25], v[86:87], v[96:97]
	v_fma_f64 v[36:37], v[102:103], s[6:7], v[100:101]
	v_fma_f64 v[76:77], v[102:103], s[2:3], v[100:101]
	v_add_f64 v[18:19], v[72:73], v[70:71]
	v_add_f64 v[22:23], v[72:73], -v[70:71]
	v_fma_f64 v[70:71], v[48:49], s[2:3], v[127:128]
	v_mul_f64 v[100:101], v[129:130], 0.5
	v_fma_f64 v[48:49], v[48:49], s[6:7], v[127:128]
	v_mul_f64 v[102:103], v[50:51], s[2:3]
	v_mul_f64 v[50:51], v[50:51], -0.5
	v_mul_f64 v[72:73], v[129:130], s[2:3]
	v_add_f64 v[26:27], v[92:93], v[98:99]
	v_add_f64 v[28:29], v[86:87], -v[96:97]
	v_fma_f64 v[86:87], v[42:43], s[2:3], v[133:134]
	v_add_f64 v[30:31], v[92:93], -v[98:99]
	v_fma_f64 v[42:43], v[42:43], s[6:7], v[133:134]
	v_mul_f64 v[92:93], v[58:59], s[2:3]
	v_mul_f64 v[58:59], v[58:59], -0.5
	v_mul_f64 v[96:97], v[135:136], s[2:3]
	v_mul_f64 v[125:126], v[135:136], 0.5
	v_fma_f64 v[98:99], v[68:69], s[2:3], v[139:140]
	v_mul_f64 v[127:128], v[141:142], s[2:3]
	v_mul_f64 v[129:130], v[141:142], 0.5
	v_fma_f64 v[68:69], v[68:69], s[6:7], v[139:140]
	v_mul_f64 v[133:134], v[117:118], s[2:3]
	v_mul_f64 v[117:118], v[117:118], -0.5
	v_fma_f64 v[135:136], v[88:89], s[2:3], v[74:75]
	v_fma_f64 v[74:75], v[88:89], s[6:7], v[74:75]
	v_mul_f64 v[88:89], v[143:144], s[2:3]
	v_mul_f64 v[139:140], v[143:144], 0.5
	v_mul_f64 v[141:142], v[82:83], s[2:3]
	v_mul_f64 v[82:83], v[82:83], -0.5
	v_fma_f64 v[147:148], v[111:112], s[2:3], v[109:110]
	v_fma_f64 v[109:110], v[111:112], s[6:7], v[109:110]
	v_add_f64 v[105:106], v[182:183], v[105:106]
	v_add_f64 v[107:108], v[184:185], v[107:108]
	;; [unrolled: 1-line block ×3, first 2 shown]
	v_fma_f64 v[143:144], v[46:47], s[2:3], v[121:122]
	v_fma_f64 v[145:146], v[44:45], s[6:7], v[123:124]
	v_mul_f64 v[111:112], v[36:37], s[2:3]
	v_mul_f64 v[36:37], v[36:37], 0.5
	v_mul_f64 v[149:150], v[76:77], s[2:3]
	v_mul_f64 v[76:77], v[76:77], -0.5
	v_fma_f64 v[121:122], v[46:47], s[6:7], v[121:122]
	v_fma_f64 v[123:124], v[44:45], s[2:3], v[123:124]
	;; [unrolled: 1-line block ×3, first 2 shown]
	v_fma_f64 v[100:101], v[48:49], -0.5, v[102:103]
	v_fma_f64 v[102:103], v[48:49], s[6:7], v[50:51]
	v_fma_f64 v[44:45], v[70:71], 0.5, v[72:73]
	v_fma_f64 v[72:73], v[38:39], s[6:7], v[80:81]
	v_fma_f64 v[151:152], v[56:57], s[6:7], v[40:41]
	;; [unrolled: 1-line block ×5, first 2 shown]
	v_fma_f64 v[92:93], v[42:43], -0.5, v[92:93]
	v_fma_f64 v[155:156], v[42:43], s[6:7], v[58:59]
	v_fma_f64 v[96:97], v[86:87], 0.5, v[96:97]
	v_fma_f64 v[86:87], v[86:87], s[6:7], v[125:126]
	v_fma_f64 v[125:126], v[54:55], s[2:3], v[60:61]
	v_fma_f64 v[127:128], v[98:99], 0.5, v[127:128]
	v_fma_f64 v[98:99], v[98:99], s[6:7], v[129:130]
	v_fma_f64 v[157:158], v[54:55], s[6:7], v[60:61]
	v_fma_f64 v[159:160], v[52:53], s[2:3], v[62:63]
	v_fma_f64 v[133:134], v[68:69], -0.5, v[133:134]
	v_fma_f64 v[117:118], v[68:69], s[6:7], v[117:118]
	v_fma_f64 v[163:164], v[84:85], s[6:7], v[64:65]
	;; [unrolled: 1-line block ×3, first 2 shown]
	v_fma_f64 v[167:168], v[135:136], 0.5, v[88:89]
	v_fma_f64 v[135:136], v[135:136], s[6:7], v[139:140]
	v_fma_f64 v[139:140], v[74:75], -0.5, v[141:142]
	v_fma_f64 v[141:142], v[74:75], s[6:7], v[82:83]
	v_fma_f64 v[129:130], v[84:85], s[2:3], v[64:65]
	;; [unrolled: 1-line block ×7, first 2 shown]
	v_fma_f64 v[173:174], v[147:148], 0.5, v[111:112]
	v_fma_f64 v[147:148], v[147:148], s[6:7], v[36:37]
	v_fma_f64 v[149:150], v[109:110], -0.5, v[149:150]
	v_fma_f64 v[175:176], v[109:110], s[6:7], v[76:77]
	v_add_f64 v[36:37], v[105:106], -v[113:114]
	v_add_f64 v[38:39], v[107:108], -v[119:120]
	v_add_f64 v[42:43], v[145:146], v[46:47]
	v_add_f64 v[48:49], v[121:122], v[100:101]
	v_add_f64 v[50:51], v[123:124], v[102:103]
	v_add_f64 v[40:41], v[143:144], v[44:45]
	v_add_f64 v[44:45], v[143:144], -v[44:45]
	v_add_f64 v[46:47], v[145:146], -v[46:47]
	v_add_f64 v[32:33], v[105:106], v[113:114]
	v_add_f64 v[34:35], v[107:108], v[119:120]
	v_add_f64 v[52:53], v[121:122], -v[100:101]
	v_add_f64 v[64:65], v[151:152], v[92:93]
	v_add_f64 v[66:67], v[80:81], v[155:156]
	v_add_f64 v[60:61], v[70:71], -v[96:97]
	v_add_f64 v[62:63], v[72:73], -v[86:87]
	v_add_f64 v[56:57], v[70:71], v[96:97]
	v_add_f64 v[58:59], v[72:73], v[86:87]
	;; [unrolled: 1-line block ×4, first 2 shown]
	v_add_f64 v[68:69], v[151:152], -v[92:93]
	v_add_f64 v[70:71], v[80:81], -v[155:156]
	;; [unrolled: 1-line block ×4, first 2 shown]
	v_add_f64 v[80:81], v[157:158], v[133:134]
	v_add_f64 v[82:83], v[159:160], v[117:118]
	v_add_f64 v[76:77], v[125:126], -v[127:128]
	v_add_f64 v[92:93], v[163:164], v[139:140]
	v_add_f64 v[94:95], v[165:166], v[141:142]
	v_add_f64 v[78:79], v[153:154], -v[98:99]
	v_add_f64 v[96:97], v[129:130], -v[167:168]
	;; [unrolled: 1-line block ×3, first 2 shown]
	v_add_f64 v[88:89], v[129:130], v[167:168]
	v_add_f64 v[90:91], v[161:162], v[135:136]
	v_add_f64 v[54:55], v[123:124], -v[102:103]
	v_add_f64 v[105:106], v[169:170], v[173:174]
	v_add_f64 v[107:108], v[171:172], v[147:148]
	;; [unrolled: 1-line block ×4, first 2 shown]
	v_add_f64 v[120:121], v[169:170], -v[173:174]
	v_add_f64 v[122:123], v[171:172], -v[147:148]
	;; [unrolled: 1-line block ×6, first 2 shown]
	s_barrier
	buffer_gl0_inv
	ds_store_b128 v236, v[0:3]
	ds_store_b128 v236, v[8:11] offset:1920
	ds_store_b128 v236, v[12:15] offset:30720
	;; [unrolled: 1-line block ×29, first 2 shown]
	s_waitcnt lgkmcnt(0)
	s_barrier
	buffer_gl0_inv
	s_and_saveexec_b32 s0, vcc_lo
	s_cbranch_execz .LBB0_19
; %bb.18:
	scratch_load_b64 v[2:3], off, off       ; 8-byte Folded Reload
	v_mov_b32_e32 v117, v104
	v_lshl_add_u32 v34, v116, 4, 0
	v_add_nc_u32_e32 v103, 0x78, v116
	s_delay_alu instid0(VALU_DEP_3) | instskip(NEXT) | instid1(VALU_DEP_2)
	v_lshlrev_b64 v[0:1], 4, v[116:117]
	v_lshlrev_b64 v[16:17], 4, v[103:104]
	v_add_nc_u32_e32 v103, 0xf0, v116
	s_delay_alu instid0(VALU_DEP_1) | instskip(SKIP_1) | instid1(VALU_DEP_1)
	v_lshlrev_b64 v[20:21], 4, v[103:104]
	v_add_nc_u32_e32 v103, 0x168, v116
	v_lshlrev_b64 v[22:23], 4, v[103:104]
	v_add_nc_u32_e32 v103, 0x1e0, v116
	s_delay_alu instid0(VALU_DEP_1) | instskip(SKIP_4) | instid1(VALU_DEP_2)
	v_lshlrev_b64 v[24:25], 4, v[103:104]
	v_add_nc_u32_e32 v103, 0x258, v116
	s_waitcnt vmcnt(0)
	v_add_co_u32 v36, vcc_lo, s8, v2
	v_add_co_ci_u32_e32 v37, vcc_lo, s9, v3, vcc_lo
	v_add_co_u32 v18, vcc_lo, v36, v0
	s_delay_alu instid0(VALU_DEP_2)
	v_add_co_ci_u32_e32 v19, vcc_lo, v37, v1, vcc_lo
	ds_load_b128 v[0:3], v34
	ds_load_b128 v[4:7], v34 offset:1920
	ds_load_b128 v[8:11], v34 offset:3840
	ds_load_b128 v[12:15], v34 offset:5760
	v_add_co_u32 v16, vcc_lo, v36, v16
	v_add_co_ci_u32_e32 v17, vcc_lo, v37, v17, vcc_lo
	v_add_co_u32 v20, vcc_lo, v36, v20
	v_add_co_ci_u32_e32 v21, vcc_lo, v37, v21, vcc_lo
	v_add_co_u32 v22, vcc_lo, v36, v22
	v_add_co_ci_u32_e32 v23, vcc_lo, v37, v23, vcc_lo
	s_waitcnt lgkmcnt(3)
	global_store_b128 v[18:19], v[0:3], off
	s_waitcnt lgkmcnt(2)
	global_store_b128 v[16:17], v[4:7], off
	;; [unrolled: 2-line block ×4, first 2 shown]
	v_lshlrev_b64 v[16:17], 4, v[103:104]
	v_add_nc_u32_e32 v103, 0x2d0, v116
	ds_load_b128 v[0:3], v34 offset:7680
	ds_load_b128 v[4:7], v34 offset:9600
	;; [unrolled: 1-line block ×4, first 2 shown]
	v_add_co_u32 v18, vcc_lo, v36, v24
	v_lshlrev_b64 v[20:21], 4, v[103:104]
	v_add_nc_u32_e32 v103, 0x348, v116
	v_add_co_ci_u32_e32 v19, vcc_lo, v37, v25, vcc_lo
	v_add_co_u32 v16, vcc_lo, v36, v16
	s_delay_alu instid0(VALU_DEP_3)
	v_lshlrev_b64 v[22:23], 4, v[103:104]
	v_add_nc_u32_e32 v103, 0x3c0, v116
	v_add_co_ci_u32_e32 v17, vcc_lo, v37, v17, vcc_lo
	v_add_co_u32 v20, vcc_lo, v36, v20
	v_add_co_ci_u32_e32 v21, vcc_lo, v37, v21, vcc_lo
	v_add_co_u32 v22, vcc_lo, v36, v22
	v_lshlrev_b64 v[24:25], 4, v[103:104]
	v_add_nc_u32_e32 v103, 0x438, v116
	v_add_co_ci_u32_e32 v23, vcc_lo, v37, v23, vcc_lo
	s_waitcnt lgkmcnt(3)
	global_store_b128 v[18:19], v[0:3], off
	s_waitcnt lgkmcnt(2)
	global_store_b128 v[16:17], v[4:7], off
	s_waitcnt lgkmcnt(1)
	global_store_b128 v[20:21], v[8:11], off
	s_waitcnt lgkmcnt(0)
	global_store_b128 v[22:23], v[12:15], off
	ds_load_b128 v[0:3], v34 offset:15360
	ds_load_b128 v[4:7], v34 offset:17280
	v_lshlrev_b64 v[16:17], 4, v[103:104]
	v_add_nc_u32_e32 v103, 0x4b0, v116
	ds_load_b128 v[8:11], v34 offset:19200
	ds_load_b128 v[12:15], v34 offset:21120
	v_add_co_u32 v18, vcc_lo, v36, v24
	v_add_co_ci_u32_e32 v19, vcc_lo, v37, v25, vcc_lo
	v_lshlrev_b64 v[20:21], 4, v[103:104]
	v_add_nc_u32_e32 v103, 0x528, v116
	v_add_co_u32 v16, vcc_lo, v36, v16
	v_add_co_ci_u32_e32 v17, vcc_lo, v37, v17, vcc_lo
	s_delay_alu instid0(VALU_DEP_3) | instskip(SKIP_3) | instid1(VALU_DEP_4)
	v_lshlrev_b64 v[22:23], 4, v[103:104]
	v_add_nc_u32_e32 v103, 0x5a0, v116
	v_add_co_u32 v20, vcc_lo, v36, v20
	v_add_co_ci_u32_e32 v21, vcc_lo, v37, v21, vcc_lo
	v_add_co_u32 v22, vcc_lo, v36, v22
	s_delay_alu instid0(VALU_DEP_4)
	v_lshlrev_b64 v[24:25], 4, v[103:104]
	v_add_nc_u32_e32 v103, 0x618, v116
	v_add_co_ci_u32_e32 v23, vcc_lo, v37, v23, vcc_lo
	s_waitcnt lgkmcnt(3)
	global_store_b128 v[18:19], v[0:3], off
	s_waitcnt lgkmcnt(2)
	global_store_b128 v[16:17], v[4:7], off
	s_waitcnt lgkmcnt(1)
	global_store_b128 v[20:21], v[8:11], off
	s_waitcnt lgkmcnt(0)
	global_store_b128 v[22:23], v[12:15], off
	ds_load_b128 v[0:3], v34 offset:23040
	ds_load_b128 v[4:7], v34 offset:24960
	v_lshlrev_b64 v[16:17], 4, v[103:104]
	v_add_nc_u32_e32 v103, 0x690, v116
	ds_load_b128 v[8:11], v34 offset:26880
	ds_load_b128 v[12:15], v34 offset:28800
	v_add_co_u32 v18, vcc_lo, v36, v24
	v_add_co_ci_u32_e32 v19, vcc_lo, v37, v25, vcc_lo
	v_lshlrev_b64 v[20:21], 4, v[103:104]
	v_add_nc_u32_e32 v103, 0x708, v116
	v_add_co_u32 v16, vcc_lo, v36, v16
	v_add_co_ci_u32_e32 v17, vcc_lo, v37, v17, vcc_lo
	s_delay_alu instid0(VALU_DEP_3) | instskip(SKIP_3) | instid1(VALU_DEP_4)
	v_lshlrev_b64 v[22:23], 4, v[103:104]
	v_add_nc_u32_e32 v103, 0x780, v116
	v_add_co_u32 v20, vcc_lo, v36, v20
	v_add_co_ci_u32_e32 v21, vcc_lo, v37, v21, vcc_lo
	v_add_co_u32 v22, vcc_lo, v36, v22
	s_delay_alu instid0(VALU_DEP_4)
	v_lshlrev_b64 v[24:25], 4, v[103:104]
	v_add_nc_u32_e32 v103, 0x7f8, v116
	v_add_co_ci_u32_e32 v23, vcc_lo, v37, v23, vcc_lo
	s_waitcnt lgkmcnt(3)
	global_store_b128 v[18:19], v[0:3], off
	s_waitcnt lgkmcnt(2)
	global_store_b128 v[16:17], v[4:7], off
	s_waitcnt lgkmcnt(1)
	global_store_b128 v[20:21], v[8:11], off
	s_waitcnt lgkmcnt(0)
	global_store_b128 v[22:23], v[12:15], off
	ds_load_b128 v[0:3], v34 offset:30720
	ds_load_b128 v[4:7], v34 offset:32640
	v_lshlrev_b64 v[16:17], 4, v[103:104]
	v_add_nc_u32_e32 v103, 0x870, v116
	ds_load_b128 v[8:11], v34 offset:34560
	ds_load_b128 v[12:15], v34 offset:36480
	v_add_co_u32 v18, vcc_lo, v36, v24
	v_add_co_ci_u32_e32 v19, vcc_lo, v37, v25, vcc_lo
	v_lshlrev_b64 v[20:21], 4, v[103:104]
	v_add_nc_u32_e32 v103, 0x8e8, v116
	v_add_co_u32 v16, vcc_lo, v36, v16
	v_add_co_ci_u32_e32 v17, vcc_lo, v37, v17, vcc_lo
	s_delay_alu instid0(VALU_DEP_3) | instskip(SKIP_3) | instid1(VALU_DEP_4)
	v_lshlrev_b64 v[22:23], 4, v[103:104]
	v_add_nc_u32_e32 v103, 0x960, v116
	v_add_co_u32 v20, vcc_lo, v36, v20
	v_add_co_ci_u32_e32 v21, vcc_lo, v37, v21, vcc_lo
	v_add_co_u32 v22, vcc_lo, v36, v22
	s_delay_alu instid0(VALU_DEP_4)
	v_lshlrev_b64 v[24:25], 4, v[103:104]
	v_add_nc_u32_e32 v103, 0x9d8, v116
	v_add_co_ci_u32_e32 v23, vcc_lo, v37, v23, vcc_lo
	s_waitcnt lgkmcnt(3)
	global_store_b128 v[18:19], v[0:3], off
	s_waitcnt lgkmcnt(2)
	global_store_b128 v[16:17], v[4:7], off
	;; [unrolled: 2-line block ×4, first 2 shown]
	ds_load_b128 v[0:3], v34 offset:38400
	ds_load_b128 v[4:7], v34 offset:40320
	v_lshlrev_b64 v[16:17], 4, v[103:104]
	v_add_nc_u32_e32 v103, 0xa50, v116
	ds_load_b128 v[8:11], v34 offset:42240
	ds_load_b128 v[12:15], v34 offset:44160
	v_add_co_u32 v18, vcc_lo, v36, v24
	v_add_co_ci_u32_e32 v19, vcc_lo, v37, v25, vcc_lo
	v_lshlrev_b64 v[20:21], 4, v[103:104]
	v_add_nc_u32_e32 v103, 0xac8, v116
	v_add_co_u32 v16, vcc_lo, v36, v16
	v_add_co_ci_u32_e32 v17, vcc_lo, v37, v17, vcc_lo
	s_delay_alu instid0(VALU_DEP_3) | instskip(SKIP_3) | instid1(VALU_DEP_3)
	v_lshlrev_b64 v[22:23], 4, v[103:104]
	v_add_nc_u32_e32 v103, 0xb40, v116
	v_add_co_u32 v20, vcc_lo, v36, v20
	v_add_co_ci_u32_e32 v21, vcc_lo, v37, v21, vcc_lo
	v_lshlrev_b64 v[24:25], 4, v[103:104]
	v_add_nc_u32_e32 v103, 0xbb8, v116
	v_add_co_u32 v22, vcc_lo, v36, v22
	v_add_co_ci_u32_e32 v23, vcc_lo, v37, v23, vcc_lo
	s_waitcnt lgkmcnt(3)
	global_store_b128 v[18:19], v[0:3], off
	s_waitcnt lgkmcnt(2)
	global_store_b128 v[16:17], v[4:7], off
	;; [unrolled: 2-line block ×4, first 2 shown]
	v_lshlrev_b64 v[8:9], 4, v[103:104]
	v_add_nc_u32_e32 v103, 0xc30, v116
	v_add_co_u32 v24, vcc_lo, v36, v24
	v_add_co_ci_u32_e32 v25, vcc_lo, v37, v25, vcc_lo
	s_delay_alu instid0(VALU_DEP_3) | instskip(SKIP_3) | instid1(VALU_DEP_4)
	v_lshlrev_b64 v[10:11], 4, v[103:104]
	v_add_co_u32 v26, vcc_lo, v36, v8
	v_add_nc_u32_e32 v103, 0xca8, v116
	v_add_co_ci_u32_e32 v27, vcc_lo, v37, v9, vcc_lo
	v_add_co_u32 v30, vcc_lo, v36, v10
	ds_load_b128 v[0:3], v34 offset:46080
	ds_load_b128 v[4:7], v34 offset:48000
	v_add_co_ci_u32_e32 v31, vcc_lo, v37, v11, vcc_lo
	ds_load_b128 v[8:11], v34 offset:49920
	ds_load_b128 v[12:15], v34 offset:51840
	;; [unrolled: 1-line block ×4, first 2 shown]
	v_lshlrev_b64 v[28:29], 4, v[103:104]
	v_add_nc_u32_e32 v103, 0xd20, v116
	s_delay_alu instid0(VALU_DEP_1) | instskip(SKIP_1) | instid1(VALU_DEP_4)
	v_lshlrev_b64 v[32:33], 4, v[103:104]
	v_add_nc_u32_e32 v103, 0xd98, v116
	v_add_co_u32 v28, vcc_lo, v36, v28
	v_add_co_ci_u32_e32 v29, vcc_lo, v37, v29, vcc_lo
	s_delay_alu instid0(VALU_DEP_3) | instskip(SKIP_2) | instid1(VALU_DEP_3)
	v_lshlrev_b64 v[34:35], 4, v[103:104]
	v_add_co_u32 v32, vcc_lo, v36, v32
	v_add_co_ci_u32_e32 v33, vcc_lo, v37, v33, vcc_lo
	v_add_co_u32 v34, vcc_lo, v36, v34
	s_delay_alu instid0(VALU_DEP_4)
	v_add_co_ci_u32_e32 v35, vcc_lo, v37, v35, vcc_lo
	s_waitcnt lgkmcnt(5)
	global_store_b128 v[24:25], v[0:3], off
	s_waitcnt lgkmcnt(4)
	global_store_b128 v[26:27], v[4:7], off
	;; [unrolled: 2-line block ×6, first 2 shown]
.LBB0_19:
	s_nop 0
	s_sendmsg sendmsg(MSG_DEALLOC_VGPRS)
	s_endpgm
	.section	.rodata,"a",@progbits
	.p2align	6, 0x0
	.amdhsa_kernel fft_rtc_back_len3600_factors_10_10_6_6_wgs_120_tpt_120_halfLds_dp_ip_CI_unitstride_sbrr_C2R_dirReg
		.amdhsa_group_segment_fixed_size 0
		.amdhsa_private_segment_fixed_size 12
		.amdhsa_kernarg_size 88
		.amdhsa_user_sgpr_count 15
		.amdhsa_user_sgpr_dispatch_ptr 0
		.amdhsa_user_sgpr_queue_ptr 0
		.amdhsa_user_sgpr_kernarg_segment_ptr 1
		.amdhsa_user_sgpr_dispatch_id 0
		.amdhsa_user_sgpr_private_segment_size 0
		.amdhsa_wavefront_size32 1
		.amdhsa_uses_dynamic_stack 0
		.amdhsa_enable_private_segment 1
		.amdhsa_system_sgpr_workgroup_id_x 1
		.amdhsa_system_sgpr_workgroup_id_y 0
		.amdhsa_system_sgpr_workgroup_id_z 0
		.amdhsa_system_sgpr_workgroup_info 0
		.amdhsa_system_vgpr_workitem_id 0
		.amdhsa_next_free_vgpr 255
		.amdhsa_next_free_sgpr 22
		.amdhsa_reserve_vcc 1
		.amdhsa_float_round_mode_32 0
		.amdhsa_float_round_mode_16_64 0
		.amdhsa_float_denorm_mode_32 3
		.amdhsa_float_denorm_mode_16_64 3
		.amdhsa_dx10_clamp 1
		.amdhsa_ieee_mode 1
		.amdhsa_fp16_overflow 0
		.amdhsa_workgroup_processor_mode 1
		.amdhsa_memory_ordered 1
		.amdhsa_forward_progress 0
		.amdhsa_shared_vgpr_count 0
		.amdhsa_exception_fp_ieee_invalid_op 0
		.amdhsa_exception_fp_denorm_src 0
		.amdhsa_exception_fp_ieee_div_zero 0
		.amdhsa_exception_fp_ieee_overflow 0
		.amdhsa_exception_fp_ieee_underflow 0
		.amdhsa_exception_fp_ieee_inexact 0
		.amdhsa_exception_int_div_zero 0
	.end_amdhsa_kernel
	.text
.Lfunc_end0:
	.size	fft_rtc_back_len3600_factors_10_10_6_6_wgs_120_tpt_120_halfLds_dp_ip_CI_unitstride_sbrr_C2R_dirReg, .Lfunc_end0-fft_rtc_back_len3600_factors_10_10_6_6_wgs_120_tpt_120_halfLds_dp_ip_CI_unitstride_sbrr_C2R_dirReg
                                        ; -- End function
	.section	.AMDGPU.csdata,"",@progbits
; Kernel info:
; codeLenInByte = 24348
; NumSgprs: 24
; NumVgprs: 255
; ScratchSize: 12
; MemoryBound: 0
; FloatMode: 240
; IeeeMode: 1
; LDSByteSize: 0 bytes/workgroup (compile time only)
; SGPRBlocks: 2
; VGPRBlocks: 31
; NumSGPRsForWavesPerEU: 24
; NumVGPRsForWavesPerEU: 255
; Occupancy: 5
; WaveLimiterHint : 1
; COMPUTE_PGM_RSRC2:SCRATCH_EN: 1
; COMPUTE_PGM_RSRC2:USER_SGPR: 15
; COMPUTE_PGM_RSRC2:TRAP_HANDLER: 0
; COMPUTE_PGM_RSRC2:TGID_X_EN: 1
; COMPUTE_PGM_RSRC2:TGID_Y_EN: 0
; COMPUTE_PGM_RSRC2:TGID_Z_EN: 0
; COMPUTE_PGM_RSRC2:TIDIG_COMP_CNT: 0
	.text
	.p2alignl 7, 3214868480
	.fill 96, 4, 3214868480
	.type	__hip_cuid_774f5b1313a1202a,@object ; @__hip_cuid_774f5b1313a1202a
	.section	.bss,"aw",@nobits
	.globl	__hip_cuid_774f5b1313a1202a
__hip_cuid_774f5b1313a1202a:
	.byte	0                               ; 0x0
	.size	__hip_cuid_774f5b1313a1202a, 1

	.ident	"AMD clang version 19.0.0git (https://github.com/RadeonOpenCompute/llvm-project roc-6.4.0 25133 c7fe45cf4b819c5991fe208aaa96edf142730f1d)"
	.section	".note.GNU-stack","",@progbits
	.addrsig
	.addrsig_sym __hip_cuid_774f5b1313a1202a
	.amdgpu_metadata
---
amdhsa.kernels:
  - .args:
      - .actual_access:  read_only
        .address_space:  global
        .offset:         0
        .size:           8
        .value_kind:     global_buffer
      - .offset:         8
        .size:           8
        .value_kind:     by_value
      - .actual_access:  read_only
        .address_space:  global
        .offset:         16
        .size:           8
        .value_kind:     global_buffer
      - .actual_access:  read_only
        .address_space:  global
        .offset:         24
        .size:           8
        .value_kind:     global_buffer
      - .offset:         32
        .size:           8
        .value_kind:     by_value
      - .actual_access:  read_only
        .address_space:  global
        .offset:         40
        .size:           8
        .value_kind:     global_buffer
      - .actual_access:  read_only
        .address_space:  global
        .offset:         48
        .size:           8
        .value_kind:     global_buffer
      - .offset:         56
        .size:           4
        .value_kind:     by_value
      - .actual_access:  read_only
        .address_space:  global
        .offset:         64
        .size:           8
        .value_kind:     global_buffer
      - .actual_access:  read_only
        .address_space:  global
        .offset:         72
        .size:           8
        .value_kind:     global_buffer
      - .address_space:  global
        .offset:         80
        .size:           8
        .value_kind:     global_buffer
    .group_segment_fixed_size: 0
    .kernarg_segment_align: 8
    .kernarg_segment_size: 88
    .language:       OpenCL C
    .language_version:
      - 2
      - 0
    .max_flat_workgroup_size: 120
    .name:           fft_rtc_back_len3600_factors_10_10_6_6_wgs_120_tpt_120_halfLds_dp_ip_CI_unitstride_sbrr_C2R_dirReg
    .private_segment_fixed_size: 12
    .sgpr_count:     24
    .sgpr_spill_count: 0
    .symbol:         fft_rtc_back_len3600_factors_10_10_6_6_wgs_120_tpt_120_halfLds_dp_ip_CI_unitstride_sbrr_C2R_dirReg.kd
    .uniform_work_group_size: 1
    .uses_dynamic_stack: false
    .vgpr_count:     255
    .vgpr_spill_count: 2
    .wavefront_size: 32
    .workgroup_processor_mode: 1
amdhsa.target:   amdgcn-amd-amdhsa--gfx1100
amdhsa.version:
  - 1
  - 2
...

	.end_amdgpu_metadata
